;; amdgpu-corpus repo=ROCm/rocFFT kind=compiled arch=gfx1201 opt=O3
	.text
	.amdgcn_target "amdgcn-amd-amdhsa--gfx1201"
	.amdhsa_code_object_version 6
	.protected	bluestein_single_fwd_len352_dim1_dp_op_CI_CI ; -- Begin function bluestein_single_fwd_len352_dim1_dp_op_CI_CI
	.globl	bluestein_single_fwd_len352_dim1_dp_op_CI_CI
	.p2align	8
	.type	bluestein_single_fwd_len352_dim1_dp_op_CI_CI,@function
bluestein_single_fwd_len352_dim1_dp_op_CI_CI: ; @bluestein_single_fwd_len352_dim1_dp_op_CI_CI
; %bb.0:
	s_load_b128 s[16:19], s[0:1], 0x28
	v_lshrrev_b32_e32 v1, 5, v0
	v_mov_b32_e32 v69, 0
	s_mov_b32 s2, exec_lo
	s_delay_alu instid0(VALU_DEP_2) | instskip(NEXT) | instid1(VALU_DEP_2)
	v_lshl_or_b32 v193, ttmp9, 1, v1
	v_mov_b32_e32 v194, v69
	s_wait_kmcnt 0x0
	s_delay_alu instid0(VALU_DEP_1)
	v_cmpx_gt_u64_e64 s[16:17], v[193:194]
	s_cbranch_execz .LBB0_18
; %bb.1:
	s_clause 0x1
	s_load_b128 s[4:7], s[0:1], 0x18
	s_load_b128 s[8:11], s[0:1], 0x0
	v_and_b32_e32 v208, 31, v0
	v_and_b32_e32 v0, 32, v0
	s_mov_b32 s26, 0xf8bb580b
	s_mov_b32 s27, 0xbfe14ced
	;; [unrolled: 1-line block ×16, first 2 shown]
	s_wait_kmcnt 0x0
	s_load_b128 s[12:15], s[4:5], 0x0
	s_mov_b32 s37, 0x3fefac9e
	s_mov_b32 s36, s22
	s_wait_kmcnt 0x0
	v_mad_co_u64_u32 v[9:10], null, s12, v208, 0
	v_mad_co_u64_u32 v[1:2], null, s14, v193, 0
	s_lshl_b64 s[2:3], s[12:13], 9
	s_delay_alu instid0(VALU_DEP_2) | instskip(NEXT) | instid1(VALU_DEP_1)
	v_dual_mov_b32 v3, v10 :: v_dual_lshlrev_b32 v210, 4, v208
	v_mad_co_u64_u32 v[4:5], null, s15, v193, v[2:3]
	s_mov_b32 s14, 0x640f44db
	s_mov_b32 s15, 0xbfc2375f
	s_delay_alu instid0(VALU_DEP_1) | instskip(SKIP_3) | instid1(VALU_DEP_1)
	v_mad_co_u64_u32 v[5:6], null, s13, v208, v[3:4]
	v_mov_b32_e32 v2, v4
	s_mov_b32 s12, 0xd9c712b6
	s_mov_b32 s13, 0x3fda9628
	v_lshlrev_b64_e32 v[11:12], 4, v[1:2]
	s_delay_alu instid0(VALU_DEP_3)
	v_mov_b32_e32 v10, v5
	s_clause 0x1
	global_load_b128 v[3:6], v210, s[8:9]
	global_load_b128 v[13:16], v210, s[8:9] offset:512
	v_add_co_u32 v1, vcc_lo, s18, v11
	v_lshlrev_b64_e32 v[17:18], 4, v[9:10]
	v_add_co_ci_u32_e32 v2, vcc_lo, s19, v12, vcc_lo
	s_clause 0x5
	global_load_b128 v[7:10], v210, s[8:9] offset:1024
	global_load_b128 v[19:22], v210, s[8:9] offset:1536
	;; [unrolled: 1-line block ×6, first 2 shown]
	v_add_co_u32 v33, vcc_lo, v1, v17
	s_wait_alu 0xfffd
	v_add_co_ci_u32_e32 v34, vcc_lo, v2, v18, vcc_lo
	s_mov_b32 s18, 0x9bcd5057
	s_delay_alu instid0(VALU_DEP_2) | instskip(SKIP_1) | instid1(VALU_DEP_2)
	v_add_co_u32 v35, vcc_lo, v33, s2
	s_wait_alu 0xfffd
	v_add_co_ci_u32_e32 v36, vcc_lo, s3, v34, vcc_lo
	global_load_b128 v[45:48], v[33:34], off
	v_add_co_u32 v37, vcc_lo, v35, s2
	s_wait_alu 0xfffd
	v_add_co_ci_u32_e32 v38, vcc_lo, s3, v36, vcc_lo
	s_clause 0x1
	global_load_b128 v[49:52], v[35:36], off
	global_load_b128 v[53:56], v[37:38], off
	v_add_co_u32 v39, vcc_lo, v37, s2
	s_wait_alu 0xfffd
	v_add_co_ci_u32_e32 v40, vcc_lo, s3, v38, vcc_lo
	s_mov_b32 s19, 0xbfeeb42a
	s_delay_alu instid0(VALU_DEP_2) | instskip(SKIP_1) | instid1(VALU_DEP_2)
	v_add_co_u32 v33, vcc_lo, v39, s2
	s_wait_alu 0xfffd
	v_add_co_ci_u32_e32 v34, vcc_lo, s3, v40, vcc_lo
	s_clause 0x1
	global_load_b128 v[57:60], v[39:40], off
	global_load_b128 v[61:64], v[33:34], off
	v_add_co_u32 v35, vcc_lo, v33, s2
	s_wait_alu 0xfffd
	v_add_co_ci_u32_e32 v36, vcc_lo, s3, v34, vcc_lo
	v_mul_u32_u24_e32 v1, 11, v208
	s_delay_alu instid0(VALU_DEP_3) | instskip(SKIP_1) | instid1(VALU_DEP_3)
	v_add_co_u32 v33, vcc_lo, v35, s2
	s_wait_alu 0xfffd
	v_add_co_ci_u32_e32 v34, vcc_lo, s3, v36, vcc_lo
	global_load_b128 v[65:68], v[35:36], off
	v_add_co_u32 v35, vcc_lo, v33, s2
	s_wait_alu 0xfffd
	v_add_co_ci_u32_e32 v36, vcc_lo, s3, v34, vcc_lo
	global_load_b128 v[70:73], v[33:34], off
	;; [unrolled: 4-line block ×4, first 2 shown]
	v_add_co_u32 v86, vcc_lo, v41, s2
	s_wait_alu 0xfffd
	v_add_co_ci_u32_e32 v87, vcc_lo, s3, v42, vcc_lo
	s_clause 0x1
	global_load_b128 v[35:38], v210, s[8:9] offset:4096
	global_load_b128 v[31:34], v210, s[8:9] offset:4608
	global_load_b128 v[82:85], v[41:42], off
	global_load_b128 v[39:42], v210, s[8:9] offset:5120
	global_load_b128 v[86:89], v[86:87], off
	v_cmp_ne_u32_e32 vcc_lo, 0, v0
	s_load_b128 s[4:7], s[6:7], 0x0
	s_mov_b32 s2, 0x8764f0ba
	s_mov_b32 s3, 0x3feaeb8c
	v_cndmask_b32_e64 v219, 0, 0x160, vcc_lo
	s_delay_alu instid0(VALU_DEP_1) | instskip(NEXT) | instid1(VALU_DEP_1)
	v_or_b32_e32 v0, v219, v208
	v_lshlrev_b32_e32 v255, 4, v0
	v_lshl_or_b32 v0, v219, 4, v210
	s_wait_loadcnt 0x15
	scratch_store_b128 off, v[3:6], off     ; 16-byte Folded Spill
	s_wait_loadcnt 0x14
	scratch_store_b128 off, v[13:16], off offset:16 ; 16-byte Folded Spill
	s_wait_loadcnt 0x13
	scratch_store_b128 off, v[7:10], off offset:32 ; 16-byte Folded Spill
	;; [unrolled: 2-line block ×7, first 2 shown]
	s_wait_loadcnt 0xd
	v_mul_f64_e32 v[90:91], v[47:48], v[5:6]
	v_mul_f64_e32 v[92:93], v[45:46], v[5:6]
	s_wait_loadcnt 0xc
	v_mul_f64_e32 v[94:95], v[51:52], v[15:16]
	v_mul_f64_e32 v[96:97], v[49:50], v[15:16]
	;; [unrolled: 3-line block ×7, first 2 shown]
	v_fma_f64 v[45:46], v[45:46], v[3:4], v[90:91]
	s_wait_loadcnt 0x6
	v_mul_f64_e32 v[118:119], v[76:77], v[140:141]
	v_mul_f64_e32 v[120:121], v[74:75], v[140:141]
	v_fma_f64 v[47:48], v[47:48], v[3:4], -v[92:93]
	v_fma_f64 v[49:50], v[49:50], v[13:14], v[94:95]
	s_wait_loadcnt 0x4
	v_mul_f64_e32 v[122:123], v[80:81], v[37:38]
	v_mul_f64_e32 v[124:125], v[78:79], v[37:38]
	s_wait_loadcnt 0x2
	v_mul_f64_e32 v[126:127], v[84:85], v[33:34]
	v_mul_f64_e32 v[128:129], v[82:83], v[33:34]
	;; [unrolled: 3-line block ×3, first 2 shown]
	v_fma_f64 v[51:52], v[51:52], v[13:14], -v[96:97]
	v_fma_f64 v[53:54], v[53:54], v[7:8], v[98:99]
	v_fma_f64 v[55:56], v[55:56], v[7:8], -v[100:101]
	s_clause 0x1
	scratch_store_b128 off, v[35:38], off offset:144
	scratch_store_b128 off, v[31:34], off offset:128
	v_fma_f64 v[57:58], v[57:58], v[19:20], v[102:103]
	v_fma_f64 v[59:60], v[59:60], v[19:20], -v[104:105]
	v_fma_f64 v[61:62], v[61:62], v[23:24], v[106:107]
	v_fma_f64 v[63:64], v[63:64], v[23:24], -v[108:109]
	scratch_store_b128 off, v[39:42], off offset:160 ; 16-byte Folded Spill
	v_fma_f64 v[65:66], v[65:66], v[27:28], v[110:111]
	v_fma_f64 v[67:68], v[67:68], v[27:28], -v[112:113]
	v_fma_f64 v[70:71], v[70:71], v[134:135], v[114:115]
	v_fma_f64 v[72:73], v[72:73], v[134:135], -v[116:117]
	;; [unrolled: 2-line block ×6, first 2 shown]
	ds_store_b128 v255, v[45:48]
	ds_store_b128 v0, v[49:52] offset:512
	ds_store_b128 v0, v[53:56] offset:1024
	;; [unrolled: 1-line block ×10, first 2 shown]
	global_wb scope:SCOPE_SE
	s_wait_storecnt_dscnt 0x0
	s_wait_kmcnt 0x0
	s_barrier_signal -1
	s_barrier_wait -1
	global_inv scope:SCOPE_SE
	ds_load_b128 v[49:52], v255
	ds_load_b128 v[70:73], v0 offset:512
	ds_load_b128 v[45:48], v0 offset:5120
	;; [unrolled: 1-line block ×10, first 2 shown]
	global_wb scope:SCOPE_SE
	s_wait_dscnt 0x0
	s_barrier_signal -1
	s_barrier_wait -1
	global_inv scope:SCOPE_SE
	v_add_f64_e32 v[90:91], v[49:50], v[70:71]
	v_add_f64_e32 v[92:93], v[51:52], v[72:73]
	v_add_f64_e64 v[94:95], v[72:73], -v[47:48]
	v_add_f64_e64 v[96:97], v[70:71], -v[45:46]
	;; [unrolled: 1-line block ×4, first 2 shown]
	v_add_f64_e32 v[106:107], v[78:79], v[57:58]
	v_add_f64_e32 v[108:109], v[80:81], v[59:60]
	v_add_f64_e64 v[98:99], v[76:77], -v[55:56]
	v_add_f64_e64 v[100:101], v[74:75], -v[53:54]
	v_add_f64_e32 v[70:71], v[70:71], v[45:46]
	v_add_f64_e32 v[72:73], v[72:73], v[47:48]
	v_add_f64_e64 v[122:123], v[86:87], -v[65:66]
	v_add_f64_e32 v[110:111], v[82:83], v[61:62]
	v_add_f64_e64 v[112:113], v[84:85], -v[63:64]
	v_add_f64_e64 v[114:115], v[82:83], -v[61:62]
	v_add_f64_e32 v[116:117], v[84:85], v[63:64]
	v_add_f64_e64 v[124:125], v[88:89], -v[67:68]
	v_add_f64_e32 v[118:119], v[86:87], v[65:66]
	v_add_f64_e32 v[120:121], v[88:89], v[67:68]
	;; [unrolled: 1-line block ×4, first 2 shown]
	v_mul_f64_e32 v[126:127], s[26:27], v[94:95]
	v_mul_f64_e32 v[128:129], s[26:27], v[96:97]
	;; [unrolled: 1-line block ×12, first 2 shown]
	s_mov_b32 s21, 0x3fed1bb4
	v_add_f64_e32 v[74:75], v[74:75], v[53:54]
	v_add_f64_e32 v[76:77], v[76:77], v[55:56]
	v_mul_f64_e32 v[146:147], s[24:25], v[98:99]
	v_mul_f64_e32 v[148:149], s[24:25], v[100:101]
	;; [unrolled: 1-line block ×16, first 2 shown]
	s_wait_alu 0xfffe
	v_mul_f64_e32 v[102:103], s[20:21], v[102:103]
	v_mul_f64_e32 v[104:105], s[20:21], v[104:105]
	;; [unrolled: 1-line block ×5, first 2 shown]
	v_add_f64_e32 v[78:79], v[90:91], v[78:79]
	v_add_f64_e32 v[80:81], v[92:93], v[80:81]
	v_mul_f64_e32 v[90:91], s[34:35], v[98:99]
	v_mul_f64_e32 v[92:93], s[34:35], v[100:101]
	v_fma_f64 v[204:205], v[70:71], s[12:13], -v[130:131]
	v_fma_f64 v[206:207], v[72:73], s[12:13], v[132:133]
	v_fma_f64 v[211:212], v[70:71], s[14:15], -v[134:135]
	v_fma_f64 v[213:214], v[72:73], s[14:15], v[136:137]
	v_fma_f64 v[130:131], v[70:71], s[12:13], v[130:131]
	;; [unrolled: 1-line block ×3, first 2 shown]
	v_fma_f64 v[215:216], v[70:71], s[16:17], -v[138:139]
	v_fma_f64 v[217:218], v[72:73], s[16:17], v[140:141]
	v_mul_f64_e32 v[98:99], s[30:31], v[98:99]
	v_mul_f64_e32 v[100:101], s[30:31], v[100:101]
	v_fma_f64 v[138:139], v[70:71], s[16:17], v[138:139]
	v_fma_f64 v[220:221], v[70:71], s[18:19], -v[94:95]
	v_fma_f64 v[222:223], v[72:73], s[18:19], v[96:97]
	v_fma_f64 v[132:133], v[72:73], s[12:13], -v[132:133]
	v_fma_f64 v[136:137], v[72:73], s[14:15], -v[136:137]
	;; [unrolled: 1-line block ×4, first 2 shown]
	v_fma_f64 v[226:227], v[76:77], s[16:17], v[148:149]
	v_fma_f64 v[146:147], v[74:75], s[16:17], v[146:147]
	v_fma_f64 v[232:233], v[74:75], s[14:15], -v[150:151]
	v_fma_f64 v[234:235], v[76:77], s[14:15], v[152:153]
	v_fma_f64 v[150:151], v[74:75], s[14:15], v[150:151]
	v_fma_f64 v[148:149], v[76:77], s[16:17], -v[148:149]
	v_mul_f64_e32 v[176:177], s[36:37], v[114:115]
	v_mul_f64_e32 v[178:179], s[26:27], v[112:113]
	;; [unrolled: 1-line block ×8, first 2 shown]
	v_fma_f64 v[236:237], v[106:107], s[18:19], -v[158:159]
	v_fma_f64 v[238:239], v[108:109], s[18:19], v[160:161]
	v_fma_f64 v[158:159], v[106:107], s[18:19], v[158:159]
	v_add_f64_e32 v[78:79], v[78:79], v[82:83]
	v_add_f64_e32 v[80:81], v[80:81], v[84:85]
	v_mul_f64_e32 v[82:83], s[20:21], v[122:123]
	v_fma_f64 v[84:85], v[70:71], s[2:3], -v[126:127]
	v_fma_f64 v[122:123], v[72:73], s[2:3], v[128:129]
	v_fma_f64 v[126:127], v[70:71], s[2:3], v[126:127]
	v_fma_f64 v[128:129], v[72:73], s[2:3], -v[128:129]
	v_fma_f64 v[70:71], v[70:71], s[18:19], v[94:95]
	v_fma_f64 v[72:73], v[72:73], s[18:19], -v[96:97]
	v_fma_f64 v[94:95], v[74:75], s[12:13], -v[142:143]
	v_fma_f64 v[96:97], v[76:77], s[12:13], v[144:145]
	v_fma_f64 v[142:143], v[74:75], s[12:13], v[142:143]
	v_fma_f64 v[144:145], v[76:77], s[12:13], -v[144:145]
	v_add_f64_e32 v[204:205], v[49:50], v[204:205]
	v_add_f64_e32 v[206:207], v[51:52], v[206:207]
	v_fma_f64 v[228:229], v[74:75], s[18:19], -v[90:91]
	v_fma_f64 v[230:231], v[76:77], s[18:19], v[92:93]
	v_add_f64_e32 v[211:212], v[49:50], v[211:212]
	v_add_f64_e32 v[213:214], v[51:52], v[213:214]
	v_fma_f64 v[90:91], v[74:75], s[18:19], v[90:91]
	v_add_f64_e32 v[130:131], v[49:50], v[130:131]
	v_add_f64_e32 v[134:135], v[49:50], v[134:135]
	;; [unrolled: 1-line block ×7, first 2 shown]
	v_fma_f64 v[92:93], v[76:77], s[18:19], -v[92:93]
	v_add_f64_e32 v[136:137], v[51:52], v[136:137]
	v_add_f64_e32 v[132:133], v[51:52], v[132:133]
	v_fma_f64 v[160:161], v[108:109], s[18:19], -v[160:161]
	v_fma_f64 v[240:241], v[106:107], s[2:3], -v[162:163]
	v_fma_f64 v[242:243], v[108:109], s[2:3], v[164:165]
	v_fma_f64 v[162:163], v[106:107], s[2:3], v[162:163]
	v_fma_f64 v[164:165], v[108:109], s[2:3], -v[164:165]
	v_fma_f64 v[248:249], v[106:107], s[12:13], -v[102:103]
	v_fma_f64 v[102:103], v[106:107], s[12:13], v[102:103]
	v_mul_f64_e32 v[190:191], s[30:31], v[124:125]
	v_add_f64_e32 v[78:79], v[78:79], v[86:87]
	v_add_f64_e32 v[80:81], v[80:81], v[88:89]
	v_fma_f64 v[86:87], v[76:77], s[14:15], -v[152:153]
	v_add_f64_e32 v[84:85], v[49:50], v[84:85]
	v_fma_f64 v[88:89], v[74:75], s[2:3], -v[98:99]
	v_add_f64_e32 v[126:127], v[49:50], v[126:127]
	v_add_f64_e32 v[128:129], v[51:52], v[128:129]
	v_fma_f64 v[152:153], v[76:77], s[2:3], v[100:101]
	v_fma_f64 v[74:75], v[74:75], s[2:3], v[98:99]
	v_fma_f64 v[76:77], v[76:77], s[2:3], -v[100:101]
	v_add_f64_e32 v[49:50], v[49:50], v[70:71]
	v_add_f64_e32 v[70:71], v[51:52], v[72:73]
	;; [unrolled: 1-line block ×4, first 2 shown]
	v_fma_f64 v[98:99], v[106:107], s[14:15], -v[154:155]
	v_fma_f64 v[100:101], v[108:109], s[14:15], v[156:157]
	v_fma_f64 v[154:155], v[106:107], s[14:15], v[154:155]
	v_fma_f64 v[156:157], v[108:109], s[14:15], -v[156:157]
	v_fma_f64 v[122:123], v[106:107], s[16:17], v[166:167]
	v_fma_f64 v[140:141], v[108:109], s[16:17], -v[168:169]
	v_add_f64_e32 v[130:131], v[146:147], v[130:131]
	v_add_f64_e32 v[90:91], v[90:91], v[134:135]
	;; [unrolled: 1-line block ×5, first 2 shown]
	v_fma_f64 v[244:245], v[110:111], s[14:15], -v[174:175]
	v_fma_f64 v[246:247], v[116:117], s[14:15], v[176:177]
	v_fma_f64 v[174:175], v[110:111], s[14:15], v[174:175]
	v_mul_f64_e32 v[196:197], s[24:25], v[124:125]
	v_mul_f64_e32 v[200:201], s[22:23], v[124:125]
	v_mul_f64_e32 v[124:125], s[20:21], v[124:125]
	v_fma_f64 v[176:177], v[116:117], s[14:15], -v[176:177]
	v_add_f64_e32 v[65:66], v[78:79], v[65:66]
	v_add_f64_e32 v[67:68], v[80:81], v[67:68]
	v_fma_f64 v[78:79], v[106:107], s[16:17], -v[166:167]
	v_fma_f64 v[80:81], v[108:109], s[16:17], v[168:169]
	v_fma_f64 v[106:107], v[108:109], s[12:13], v[104:105]
	v_fma_f64 v[104:105], v[108:109], s[12:13], -v[104:105]
	v_add_f64_e32 v[84:85], v[94:95], v[84:85]
	v_add_f64_e32 v[94:95], v[142:143], v[126:127]
	;; [unrolled: 1-line block ×15, first 2 shown]
	v_fma_f64 v[166:167], v[110:111], s[16:17], -v[170:171]
	v_fma_f64 v[168:169], v[116:117], s[16:17], v[172:173]
	v_fma_f64 v[170:171], v[110:111], s[16:17], v[170:171]
	v_fma_f64 v[172:173], v[116:117], s[16:17], -v[172:173]
	v_fma_f64 v[86:87], v[110:111], s[2:3], v[178:179]
	v_fma_f64 v[92:93], v[116:117], s[2:3], -v[180:181]
	v_fma_f64 v[96:97], v[110:111], s[18:19], -v[182:183]
	v_fma_f64 v[132:133], v[116:117], s[18:19], v[184:185]
	v_fma_f64 v[136:137], v[110:111], s[18:19], v[182:183]
	v_fma_f64 v[148:149], v[116:117], s[18:19], -v[184:185]
	v_fma_f64 v[152:153], v[118:119], s[18:19], -v[186:187]
	v_fma_f64 v[184:185], v[110:111], s[12:13], -v[112:113]
	v_add_f64_e32 v[90:91], v[102:103], v[90:91]
	v_add_f64_e32 v[102:103], v[240:241], v[134:135]
	v_fma_f64 v[182:183], v[120:121], s[18:19], -v[188:189]
	v_fma_f64 v[134:135], v[118:119], s[16:17], v[196:197]
	v_add_lshl_u32 v211, v219, v1, 4
	v_add_f64_e32 v[61:62], v[65:66], v[61:62]
	v_add_f64_e32 v[63:64], v[67:68], v[63:64]
	v_fma_f64 v[65:66], v[110:111], s[2:3], -v[178:179]
	v_fma_f64 v[67:68], v[116:117], s[2:3], v[180:181]
	v_fma_f64 v[180:181], v[118:119], s[18:19], v[186:187]
	;; [unrolled: 1-line block ×4, first 2 shown]
	v_fma_f64 v[112:113], v[116:117], s[12:13], -v[114:115]
	v_add_f64_e32 v[84:85], v[98:99], v[84:85]
	v_add_f64_e32 v[94:95], v[154:155], v[94:95]
	;; [unrolled: 1-line block ×18, first 2 shown]
	v_fma_f64 v[178:179], v[120:121], s[18:19], v[188:189]
	v_fma_f64 v[100:101], v[120:121], s[2:3], -v[194:195]
	v_fma_f64 v[122:123], v[120:121], s[16:17], v[198:199]
	v_fma_f64 v[138:139], v[120:121], s[16:17], -v[198:199]
	;; [unrolled: 2-line block ×4, first 2 shown]
	v_fma_f64 v[150:151], v[118:119], s[12:13], -v[124:125]
	v_add_f64_e32 v[86:87], v[86:87], v[90:91]
	v_add_f64_e32 v[90:91], v[96:97], v[102:103]
	v_fma_f64 v[88:89], v[118:119], s[2:3], v[190:191]
	v_add_f64_e32 v[57:58], v[61:62], v[57:58]
	v_add_f64_e32 v[59:60], v[63:64], v[59:60]
	v_fma_f64 v[61:62], v[118:119], s[2:3], -v[190:191]
	v_fma_f64 v[63:64], v[120:121], s[2:3], v[194:195]
	v_fma_f64 v[120:121], v[120:121], s[12:13], -v[82:83]
	v_fma_f64 v[140:141], v[118:119], s[14:15], -v[200:201]
	v_fma_f64 v[144:145], v[118:119], s[14:15], v[200:201]
	v_fma_f64 v[118:119], v[118:119], s[12:13], v[124:125]
	v_add_f64_e32 v[82:83], v[166:167], v[84:85]
	v_add_f64_e32 v[84:85], v[170:171], v[94:95]
	;; [unrolled: 1-line block ×18, first 2 shown]
	s_load_b64 s[2:3], s[0:1], 0x38
	v_add_f64_e32 v[70:71], v[150:151], v[90:91]
	v_add_f64_e32 v[128:129], v[57:58], v[53:54]
	;; [unrolled: 1-line block ×22, first 2 shown]
                                        ; implicit-def: $vgpr113_vgpr114
	v_add_f64_e32 v[45:46], v[128:129], v[45:46]
	v_add_f64_e32 v[47:48], v[130:131], v[47:48]
	ds_store_b128 v211, v[53:56] offset:32
	ds_store_b128 v211, v[61:64] offset:48
	;; [unrolled: 1-line block ×9, first 2 shown]
	ds_store_b128 v211, v[45:48]
	ds_store_b128 v211, v[49:52] offset:16
	global_wb scope:SCOPE_SE
	s_wait_dscnt 0x0
	s_wait_kmcnt 0x0
	s_barrier_signal -1
	s_barrier_wait -1
	global_inv scope:SCOPE_SE
	ds_load_b128 v[45:48], v255
	ds_load_b128 v[77:80], v0 offset:512
	ds_load_b128 v[73:76], v0 offset:3328
	;; [unrolled: 1-line block ×9, first 2 shown]
	v_or_b32_e32 v68, 0xa0, v208
	s_delay_alu instid0(VALU_DEP_1)
	v_cmp_gt_u64_e32 vcc_lo, 0xb0, v[68:69]
	s_and_saveexec_b32 s0, vcc_lo
	s_cbranch_execz .LBB0_3
; %bb.2:
	ds_load_b128 v[81:84], v0 offset:2560
	ds_load_b128 v[113:116], v0 offset:5376
.LBB0_3:
	s_wait_alu 0xfffe
	s_or_b32 exec_lo, exec_lo, s0
	v_or_b32_e32 v1, 0x80, v208
	v_mul_lo_u16 v3, 0x75, v68
	v_mul_lo_u16 v4, v208, 24
	v_or_b32_e32 v5, 32, v208
	v_or_b32_e32 v7, 64, v208
	v_mul_lo_u16 v2, 0x75, v1
	v_lshrrev_b16 v3, 8, v3
	v_or_b32_e32 v8, 0x60, v208
	v_lshrrev_b16 v4, 8, v4
	v_mul_lo_u16 v10, v5, 47
	v_lshrrev_b16 v2, 8, v2
	v_sub_nc_u16 v9, v68, v3
	v_mul_lo_u16 v11, 0xbb, v7
	v_mul_lo_u16 v12, 0xbb, v8
	;; [unrolled: 1-line block ×3, first 2 shown]
	v_sub_nc_u16 v6, v1, v2
	v_lshrrev_b16 v9, 1, v9
	v_lshrrev_b16 v10, 9, v10
	;; [unrolled: 1-line block ×3, first 2 shown]
	s_delay_alu instid0(VALU_DEP_4) | instskip(NEXT) | instid1(VALU_DEP_1)
	v_lshrrev_b16 v6, 1, v6
	v_and_b32_e32 v6, 0x7f, v6
	s_delay_alu instid0(VALU_DEP_1)
	v_add_nc_u16 v2, v6, v2
	v_and_b32_e32 v6, 0x7f, v9
	v_lshrrev_b16 v9, 11, v12
	v_sub_nc_u16 v12, v208, v13
	v_mul_lo_u16 v13, v10, 11
	v_lshrrev_b16 v2, 3, v2
	v_add_nc_u16 v3, v6, v3
	v_mul_lo_u16 v6, v11, 11
	v_mul_lo_u16 v14, v9, 11
	v_and_b32_e32 v15, 0xff, v12
	v_and_b32_e32 v2, 31, v2
	v_lshrrev_b16 v3, 3, v3
	v_sub_nc_u16 v5, v5, v13
	v_sub_nc_u16 v6, v7, v6
	;; [unrolled: 1-line block ×3, first 2 shown]
	v_mul_lo_u16 v8, v2, 11
	v_mul_lo_u16 v13, v3, 11
	v_lshlrev_b32_e32 v14, 4, v15
	v_and_b32_e32 v15, 0xff, v5
	v_and_b32_e32 v6, 0xff, v6
	v_sub_nc_u16 v1, v1, v8
	v_sub_nc_u16 v8, v68, v13
	v_and_b32_e32 v7, 0xff, v7
	v_lshlrev_b32_e32 v13, 4, v15
	v_lshlrev_b32_e32 v15, 4, v6
	v_and_b32_e32 v1, 0xff, v1
	v_and_b32_e32 v16, 0xff, v8
	v_lshlrev_b32_e32 v8, 4, v7
	s_clause 0x1
	global_load_b128 v[57:60], v14, s[10:11]
	global_load_b128 v[61:64], v13, s[10:11]
	v_lshlrev_b32_e32 v13, 4, v1
	v_lshlrev_b32_e32 v14, 4, v16
	scratch_store_b32 off, v16, off offset:176 ; 4-byte Folded Spill
	s_clause 0x3
	global_load_b128 v[65:68], v15, s[10:11]
	global_load_b128 v[69:72], v8, s[10:11]
	;; [unrolled: 1-line block ×4, first 2 shown]
	v_and_b32_e32 v8, 0xffff, v11
	v_and_b32_e32 v9, 0xffff, v9
	;; [unrolled: 1-line block ×3, first 2 shown]
	v_mad_u16 v4, v4, 22, v12
	v_mad_u16 v5, v10, 22, v5
	v_mul_u32_u24_e32 v8, 22, v8
	v_mul_u32_u24_e32 v9, 22, v9
	;; [unrolled: 1-line block ×3, first 2 shown]
	v_and_b32_e32 v4, 0xff, v4
	v_and_b32_e32 v5, 0xff, v5
	v_add_nc_u32_e32 v6, v8, v6
	v_add_nc_u32_e32 v7, v9, v7
	v_add_nc_u32_e32 v1, v2, v1
	v_add_lshl_u32 v9, v219, v4, 4
	v_add_lshl_u32 v8, v219, v5, 4
	;; [unrolled: 1-line block ×4, first 2 shown]
	v_and_b32_e32 v3, 0xffff, v3
	v_add_lshl_u32 v1, v219, v1, 4
	scratch_store_b32 off, v3, off offset:180 ; 4-byte Folded Spill
	global_wb scope:SCOPE_SE
	s_wait_storecnt 0x0
	s_wait_loadcnt_dscnt 0x0
	s_barrier_signal -1
	s_barrier_wait -1
	global_inv scope:SCOPE_SE
	scratch_store_b32 off, v9, off offset:200 ; 4-byte Folded Spill
	v_mul_f64_e32 v[117:118], v[107:108], v[59:60]
	v_mul_f64_e32 v[119:120], v[105:106], v[59:60]
	;; [unrolled: 1-line block ×12, first 2 shown]
	v_fma_f64 v[105:106], v[105:106], v[57:58], -v[117:118]
	v_fma_f64 v[107:108], v[107:108], v[57:58], v[119:120]
	v_fma_f64 v[117:118], v[73:74], v[61:62], -v[121:122]
	v_fma_f64 v[119:120], v[75:76], v[61:62], v[123:124]
	v_fma_f64 v[101:102], v[101:102], v[69:70], -v[129:130]
	v_fma_f64 v[121:122], v[85:86], v[65:66], -v[125:126]
	v_fma_f64 v[123:124], v[87:88], v[65:66], v[127:128]
	v_fma_f64 v[103:104], v[103:104], v[69:70], v[131:132]
	v_fma_f64 v[125:126], v[89:90], v[53:54], -v[133:134]
	v_fma_f64 v[127:128], v[91:92], v[53:54], v[135:136]
	v_fma_f64 v[113:114], v[113:114], v[49:50], -v[137:138]
	v_fma_f64 v[115:116], v[115:116], v[49:50], v[139:140]
	v_add_f64_e64 v[73:74], v[45:46], -v[105:106]
	v_add_f64_e64 v[75:76], v[47:48], -v[107:108]
	;; [unrolled: 1-line block ×12, first 2 shown]
	v_fma_f64 v[133:134], v[45:46], 2.0, -v[73:74]
	v_fma_f64 v[135:136], v[47:48], 2.0, -v[75:76]
	;; [unrolled: 1-line block ×12, first 2 shown]
	ds_store_b128 v9, v[133:136]
	ds_store_b128 v9, v[73:76] offset:176
	ds_store_b128 v8, v[77:80]
	scratch_store_b32 off, v8, off offset:196 ; 4-byte Folded Spill
	ds_store_b128 v8, v[85:88] offset:176
	ds_store_b128 v5, v[93:96]
	scratch_store_b32 off, v5, off offset:188 ; 4-byte Folded Spill
	;; [unrolled: 3-line block ×4, first 2 shown]
	ds_store_b128 v1, v[125:128] offset:176
	s_and_saveexec_b32 s0, vcc_lo
	s_cbranch_execz .LBB0_5
; %bb.4:
	s_clause 0x1
	scratch_load_b32 v1, off, off offset:180
	scratch_load_b32 v2, off, off offset:176
	s_wait_loadcnt 0x1
	v_mul_u32_u24_e32 v1, 22, v1
	s_wait_loadcnt 0x0
	s_delay_alu instid0(VALU_DEP_1) | instskip(NEXT) | instid1(VALU_DEP_1)
	v_add_nc_u32_e32 v1, v1, v2
	v_add_lshl_u32 v1, v219, v1, 4
	ds_store_b128 v1, v[113:116]
	ds_store_b128 v1, v[129:132] offset:176
.LBB0_5:
	s_wait_alu 0xfffe
	s_or_b32 exec_lo, exec_lo, s0
	v_add_co_u32 v149, s0, s8, v210
	s_wait_alu 0xf1ff
	v_add_co_ci_u32_e64 v150, null, s9, 0, s0
	v_cmp_gt_u32_e64 s0, 22, v208
	global_wb scope:SCOPE_SE
	s_wait_storecnt_dscnt 0x0
	s_barrier_signal -1
	s_barrier_wait -1
	global_inv scope:SCOPE_SE
                                        ; implicit-def: $vgpr141_vgpr142
                                        ; implicit-def: $vgpr145_vgpr146
                                        ; implicit-def: $vgpr137_vgpr138
                                        ; implicit-def: $vgpr117_vgpr118
	s_and_saveexec_b32 s1, s0
	s_cbranch_execz .LBB0_7
; %bb.6:
	ds_load_b128 v[133:136], v255
	ds_load_b128 v[73:76], v0 offset:352
	ds_load_b128 v[77:80], v0 offset:704
	;; [unrolled: 1-line block ×15, first 2 shown]
.LBB0_7:
	s_wait_alu 0xfffe
	s_or_b32 exec_lo, exec_lo, s1
	v_subrev_nc_u32_e32 v1, 22, v208
	s_mov_b32 s13, 0x3fe6a09e
	s_mov_b32 s16, 0xcf328d46
	;; [unrolled: 1-line block ×4, first 2 shown]
	v_cndmask_b32_e64 v1, v1, v208, s0
	s_wait_alu 0xfffe
	s_mov_b32 s20, s16
	s_mov_b32 s14, 0xa6aea964
	s_mov_b32 s15, 0xbfd87de2
	s_mov_b32 s19, 0x3fd87de2
	v_mul_i32_i24_e32 v2, 0xf0, v1
	v_mul_hi_i32_i24_e32 v1, 0xf0, v1
	s_wait_alu 0xfffe
	s_mov_b32 s18, s14
	s_delay_alu instid0(VALU_DEP_2)
	v_add_co_u32 v151, s1, s10, v2
	s_wait_alu 0xf1ff
	v_add_co_ci_u32_e64 v152, s1, s11, v1, s1
	s_mov_b32 s10, 0x667f3bcd
	s_mov_b32 s11, 0xbfe6a09e
	s_wait_alu 0xfffe
	s_mov_b32 s12, s10
	s_clause 0x1
	global_load_b128 v[45:48], v[151:152], off offset:176
	global_load_b128 v[81:84], v[151:152], off offset:192
	s_wait_loadcnt_dscnt 0x10e
	v_mul_f64_e32 v[97:98], v[75:76], v[47:48]
	s_delay_alu instid0(VALU_DEP_1) | instskip(SKIP_1) | instid1(VALU_DEP_1)
	v_fma_f64 v[159:160], v[73:74], v[45:46], -v[97:98]
	v_mul_f64_e32 v[73:74], v[73:74], v[47:48]
	v_fma_f64 v[161:162], v[75:76], v[45:46], v[73:74]
	s_wait_loadcnt_dscnt 0xd
	v_mul_f64_e32 v[73:74], v[79:80], v[83:84]
	s_delay_alu instid0(VALU_DEP_1) | instskip(SKIP_1) | instid1(VALU_DEP_1)
	v_fma_f64 v[163:164], v[77:78], v[81:82], -v[73:74]
	v_mul_f64_e32 v[73:74], v[77:78], v[83:84]
	v_fma_f64 v[167:168], v[79:80], v[81:82], v[73:74]
	s_clause 0x1
	global_load_b128 v[77:80], v[151:152], off offset:208
	global_load_b128 v[73:76], v[151:152], off offset:224
	s_wait_loadcnt_dscnt 0x10c
	v_mul_f64_e32 v[97:98], v[87:88], v[79:80]
	s_delay_alu instid0(VALU_DEP_1) | instskip(SKIP_1) | instid1(VALU_DEP_1)
	v_fma_f64 v[169:170], v[85:86], v[77:78], -v[97:98]
	v_mul_f64_e32 v[85:86], v[85:86], v[79:80]
	v_fma_f64 v[177:178], v[87:88], v[77:78], v[85:86]
	s_wait_loadcnt_dscnt 0xb
	v_mul_f64_e32 v[85:86], v[95:96], v[75:76]
	s_delay_alu instid0(VALU_DEP_1) | instskip(SKIP_1) | instid1(VALU_DEP_1)
	v_fma_f64 v[165:166], v[93:94], v[73:74], -v[85:86]
	v_mul_f64_e32 v[85:86], v[93:94], v[75:76]
	v_fma_f64 v[171:172], v[95:96], v[73:74], v[85:86]
	;; [unrolled: 15-line block ×4, first 2 shown]
	s_clause 0x1
	global_load_b128 v[101:104], v[151:152], off offset:352
	global_load_b128 v[105:108], v[151:152], off offset:336
	v_add_f64_e64 v[202:203], v[135:136], -v[155:156]
	s_delay_alu instid0(VALU_DEP_1) | instskip(SKIP_2) | instid1(VALU_DEP_1)
	v_fma_f64 v[135:136], v[135:136], 2.0, -v[202:203]
	s_wait_loadcnt_dscnt 0x103
	v_mul_f64_e32 v[109:110], v[119:120], v[103:104]
	v_fma_f64 v[157:158], v[117:118], v[101:102], -v[109:110]
	v_mul_f64_e32 v[109:110], v[117:118], v[103:104]
	s_delay_alu instid0(VALU_DEP_2) | instskip(NEXT) | instid1(VALU_DEP_2)
	v_add_f64_e64 v[204:205], v[165:166], -v[157:158]
	v_fma_f64 v[187:188], v[119:120], v[101:102], v[109:110]
	s_clause 0x1
	global_load_b128 v[117:120], v[151:152], off offset:320
	global_load_b128 v[109:112], v[151:152], off offset:304
	v_add_f64_e32 v[230:231], v[202:203], v[204:205]
	v_add_f64_e64 v[187:188], v[171:172], -v[187:188]
	v_fma_f64 v[204:205], v[165:166], 2.0, -v[204:205]
	s_wait_loadcnt 0x1
	v_mul_f64_e32 v[121:122], v[115:116], v[119:120]
	s_delay_alu instid0(VALU_DEP_1) | instskip(SKIP_1) | instid1(VALU_DEP_2)
	v_fma_f64 v[189:190], v[113:114], v[117:118], -v[121:122]
	v_mul_f64_e32 v[113:114], v[113:114], v[119:120]
	v_add_f64_e64 v[189:190], v[163:164], -v[189:190]
	s_delay_alu instid0(VALU_DEP_2)
	v_fma_f64 v[191:192], v[115:116], v[117:118], v[113:114]
	s_clause 0x1
	global_load_b128 v[121:124], v[151:152], off offset:384
	global_load_b128 v[113:116], v[151:152], off offset:368
	v_fma_f64 v[163:164], v[163:164], 2.0, -v[189:190]
	v_add_f64_e64 v[191:192], v[167:168], -v[191:192]
	s_delay_alu instid0(VALU_DEP_1) | instskip(SKIP_2) | instid1(VALU_DEP_1)
	v_fma_f64 v[167:168], v[167:168], 2.0, -v[191:192]
	s_wait_loadcnt_dscnt 0x101
	v_mul_f64_e32 v[194:195], v[147:148], v[123:124]
	v_fma_f64 v[194:195], v[145:146], v[121:122], -v[194:195]
	v_mul_f64_e32 v[145:146], v[145:146], v[123:124]
	s_delay_alu instid0(VALU_DEP_2) | instskip(NEXT) | instid1(VALU_DEP_2)
	v_add_f64_e64 v[194:195], v[179:180], -v[194:195]
	v_fma_f64 v[145:146], v[147:148], v[121:122], v[145:146]
	v_mul_f64_e32 v[147:148], v[127:128], v[111:112]
	s_delay_alu instid0(VALU_DEP_3) | instskip(NEXT) | instid1(VALU_DEP_3)
	v_add_f64_e32 v[228:229], v[191:192], v[194:195]
	v_add_f64_e64 v[200:201], v[181:182], -v[145:146]
	s_delay_alu instid0(VALU_DEP_3) | instskip(SKIP_2) | instid1(VALU_DEP_4)
	v_fma_f64 v[147:148], v[125:126], v[109:110], -v[147:148]
	v_mul_f64_e32 v[125:126], v[125:126], v[111:112]
	v_fma_f64 v[179:180], v[179:180], 2.0, -v[194:195]
	v_add_f64_e64 v[226:227], v[189:190], -v[200:201]
	s_delay_alu instid0(VALU_DEP_4) | instskip(NEXT) | instid1(VALU_DEP_4)
	v_add_f64_e64 v[206:207], v[159:160], -v[147:148]
	v_fma_f64 v[196:197], v[127:128], v[109:110], v[125:126]
	s_wait_loadcnt 0x0
	v_mul_f64_e32 v[125:126], v[137:138], v[115:116]
	s_delay_alu instid0(VALU_DEP_2) | instskip(NEXT) | instid1(VALU_DEP_2)
	v_add_f64_e64 v[196:197], v[161:162], -v[196:197]
	v_fma_f64 v[198:199], v[139:140], v[113:114], v[125:126]
	v_mul_f64_e32 v[125:126], v[139:140], v[115:116]
	s_delay_alu instid0(VALU_DEP_2) | instskip(NEXT) | instid1(VALU_DEP_2)
	v_add_f64_e64 v[198:199], v[175:176], -v[198:199]
	v_fma_f64 v[137:138], v[137:138], v[113:114], -v[125:126]
	v_mul_f64_e32 v[125:126], v[131:132], v[107:108]
	s_delay_alu instid0(VALU_DEP_3) | instskip(NEXT) | instid1(VALU_DEP_3)
	v_add_f64_e64 v[232:233], v[206:207], -v[198:199]
	v_add_f64_e64 v[137:138], v[173:174], -v[137:138]
	s_delay_alu instid0(VALU_DEP_3) | instskip(SKIP_2) | instid1(VALU_DEP_4)
	v_fma_f64 v[139:140], v[129:130], v[105:106], -v[125:126]
	v_mul_f64_e32 v[125:126], v[129:130], v[107:108]
	v_fma_f64 v[194:195], v[175:176], 2.0, -v[198:199]
	v_add_f64_e32 v[238:239], v[196:197], v[137:138]
	s_delay_alu instid0(VALU_DEP_4) | instskip(NEXT) | instid1(VALU_DEP_4)
	v_add_f64_e64 v[139:140], v[169:170], -v[139:140]
	v_fma_f64 v[129:130], v[131:132], v[105:106], v[125:126]
	global_load_b128 v[125:128], v[151:152], off offset:400
	v_fma_f64 v[137:138], v[173:174], 2.0, -v[137:138]
	v_fma_f64 v[173:174], v[206:207], 2.0, -v[232:233]
	;; [unrolled: 1-line block ×4, first 2 shown]
	v_add_f64_e64 v[220:221], v[177:178], -v[129:130]
	s_delay_alu instid0(VALU_DEP_1) | instskip(SKIP_2) | instid1(VALU_DEP_1)
	v_fma_f64 v[177:178], v[177:178], 2.0, -v[220:221]
	s_wait_loadcnt_dscnt 0x0
	v_mul_f64_e32 v[131:132], v[141:142], v[127:128]
	v_fma_f64 v[131:132], v[143:144], v[125:126], v[131:132]
	v_mul_f64_e32 v[143:144], v[143:144], v[127:128]
	s_delay_alu instid0(VALU_DEP_2) | instskip(NEXT) | instid1(VALU_DEP_2)
	v_add_f64_e64 v[222:223], v[185:186], -v[131:132]
	v_fma_f64 v[141:142], v[141:142], v[125:126], -v[143:144]
	v_add_f64_e64 v[143:144], v[133:134], -v[153:154]
	s_delay_alu instid0(VALU_DEP_3) | instskip(NEXT) | instid1(VALU_DEP_3)
	v_add_f64_e64 v[234:235], v[139:140], -v[222:223]
	v_add_f64_e64 v[141:142], v[183:184], -v[141:142]
	s_delay_alu instid0(VALU_DEP_3)
	v_add_f64_e64 v[224:225], v[143:144], -v[187:188]
	v_fma_f64 v[133:134], v[133:134], 2.0, -v[143:144]
	v_fma_f64 v[187:188], v[171:172], 2.0, -v[187:188]
	;; [unrolled: 1-line block ×4, first 2 shown]
	v_add_f64_e32 v[236:237], v[220:221], v[141:142]
	s_wait_alu 0xfffe
	v_fma_f64 v[129:130], v[226:227], s[12:13], v[224:225]
	v_fma_f64 v[165:166], v[143:144], 2.0, -v[224:225]
	v_fma_f64 v[143:144], v[189:190], 2.0, -v[226:227]
	;; [unrolled: 1-line block ×7, first 2 shown]
	v_add_f64_e64 v[200:201], v[135:136], -v[187:188]
	v_fma_f64 v[185:186], v[220:221], 2.0, -v[236:237]
	v_fma_f64 v[151:152], v[228:229], s[10:11], v[129:130]
	v_fma_f64 v[129:130], v[228:229], s[12:13], v[230:231]
	;; [unrolled: 1-line block ×3, first 2 shown]
	v_add_f64_e64 v[141:142], v[169:170], -v[141:142]
	v_add_f64_e64 v[183:184], v[177:178], -v[183:184]
	;; [unrolled: 1-line block ×3, first 2 shown]
	v_fma_f64 v[191:192], v[135:136], 2.0, -v[200:201]
	v_fma_f64 v[155:156], v[224:225], 2.0, -v[151:152]
	;; [unrolled: 1-line block ×3, first 2 shown]
	v_fma_f64 v[161:162], v[181:182], s[10:11], v[171:172]
	v_fma_f64 v[153:154], v[226:227], s[12:13], v[129:130]
	;; [unrolled: 1-line block ×4, first 2 shown]
	v_fma_f64 v[220:221], v[169:170], 2.0, -v[141:142]
	v_fma_f64 v[226:227], v[177:178], 2.0, -v[183:184]
	;; [unrolled: 1-line block ×3, first 2 shown]
	v_add_f64_e64 v[202:203], v[224:225], -v[194:195]
	v_fma_f64 v[161:162], v[143:144], s[12:13], v[161:162]
	v_fma_f64 v[143:144], v[139:140], s[10:11], v[173:174]
	v_fma_f64 v[145:146], v[236:237], s[10:11], v[129:130]
	v_fma_f64 v[129:130], v[236:237], s[12:13], v[238:239]
	v_fma_f64 v[157:158], v[230:231], 2.0, -v[153:154]
	v_add_f64_e32 v[206:207], v[202:203], v[141:142]
	v_fma_f64 v[194:195], v[224:225], 2.0, -v[202:203]
	v_fma_f64 v[181:182], v[185:186], s[10:11], v[143:144]
	v_fma_f64 v[143:144], v[185:186], s[10:11], v[175:176]
	;; [unrolled: 1-line block ×4, first 2 shown]
	v_fma_f64 v[240:241], v[232:233], 2.0, -v[145:146]
	s_delay_alu instid0(VALU_DEP_4)
	v_fma_f64 v[185:186], v[139:140], s[12:13], v[143:144]
	v_add_f64_e64 v[139:140], v[163:164], -v[179:180]
	v_add_f64_e64 v[143:144], v[167:168], -v[189:190]
	;; [unrolled: 1-line block ×3, first 2 shown]
	v_fma_f64 v[131:132], v[147:148], s[20:21], v[153:154]
	v_add_f64_e64 v[204:205], v[198:199], -v[183:184]
	v_fma_f64 v[129:130], v[147:148], s[14:15], v[129:130]
	v_fma_f64 v[189:190], v[163:164], 2.0, -v[139:140]
	v_fma_f64 v[196:197], v[167:168], 2.0, -v[143:144]
	v_add_f64_e64 v[163:164], v[179:180], -v[143:144]
	v_add_f64_e32 v[167:168], v[200:201], v[139:140]
	v_fma_f64 v[131:132], v[145:146], s[18:19], v[131:132]
	v_fma_f64 v[145:146], v[238:239], 2.0, -v[147:148]
	v_fma_f64 v[183:184], v[133:134], 2.0, -v[179:180]
	v_fma_f64 v[147:148], v[240:241], s[14:15], v[155:156]
	v_add_f64_e64 v[177:178], v[191:192], -v[196:197]
	v_fma_f64 v[137:138], v[204:205], s[12:13], v[163:164]
	v_fma_f64 v[139:140], v[206:207], s[12:13], v[167:168]
	v_add_f64_e64 v[196:197], v[194:195], -v[226:227]
	v_fma_f64 v[242:243], v[145:146], s[14:15], v[157:158]
	v_add_f64_e64 v[169:170], v[183:184], -v[189:190]
	v_add_f64_e64 v[189:190], v[187:188], -v[220:221]
	v_fma_f64 v[145:146], v[145:146], s[16:17], v[147:148]
	v_fma_f64 v[141:142], v[206:207], s[10:11], v[137:138]
	;; [unrolled: 1-line block ×6, first 2 shown]
	v_add_f64_e64 v[133:134], v[169:170], -v[196:197]
	v_add_f64_e32 v[135:136], v[177:178], v[189:190]
	v_fma_f64 v[137:138], v[185:186], s[16:17], v[137:138]
	v_fma_f64 v[139:140], v[181:182], s[20:21], v[139:140]
	s_and_saveexec_b32 s1, s0
	s_cbranch_execz .LBB0_9
; %bb.8:
	v_fma_f64 v[202:203], v[202:203], 2.0, -v[206:207]
	v_fma_f64 v[198:199], v[198:199], 2.0, -v[204:205]
	;; [unrolled: 1-line block ×20, first 2 shown]
	v_fma_f64 v[183:184], v[175:176], s[16:17], v[204:205]
	v_fma_f64 v[187:188], v[185:186], s[16:17], v[206:207]
	;; [unrolled: 1-line block ×4, first 2 shown]
	v_add_f64_e64 v[173:174], v[191:192], -v[165:166]
	v_fma_f64 v[165:166], v[167:168], 2.0, -v[143:144]
	v_add_f64_e64 v[171:172], v[194:195], -v[171:172]
	v_fma_f64 v[185:186], v[185:186], s[18:19], v[183:184]
	v_fma_f64 v[183:184], v[175:176], s[14:15], v[187:188]
	;; [unrolled: 1-line block ×4, first 2 shown]
	v_fma_f64 v[175:176], v[169:170], 2.0, -v[133:134]
	v_fma_f64 v[189:190], v[191:192], 2.0, -v[173:174]
	;; [unrolled: 1-line block ×7, first 2 shown]
	ds_store_b128 v255, v[187:190]
	ds_store_b128 v0, v[155:158] offset:1056
	ds_store_b128 v0, v[175:178] offset:1408
	;; [unrolled: 1-line block ×15, first 2 shown]
.LBB0_9:
	s_wait_alu 0xfffe
	s_or_b32 exec_lo, exec_lo, s1
	global_wb scope:SCOPE_SE
	s_wait_dscnt 0x0
	s_barrier_signal -1
	s_barrier_wait -1
	global_inv scope:SCOPE_SE
	global_load_b128 v[149:152], v[149:150], off offset:5632
	s_add_nc_u64 s[8:9], s[8:9], 0x1600
	s_clause 0x4
	global_load_b128 v[153:156], v210, s[8:9] offset:512
	global_load_b128 v[157:160], v210, s[8:9] offset:1024
	global_load_b128 v[161:164], v210, s[8:9] offset:1536
	global_load_b128 v[165:168], v210, s[8:9] offset:2048
	global_load_b128 v[169:172], v210, s[8:9] offset:2560
	ds_load_b128 v[173:176], v255
	global_load_b128 v[177:180], v210, s[8:9] offset:3072
	v_lshlrev_b32_e32 v1, 4, v219
	s_mov_b32 s20, 0xf8bb580b
	s_mov_b32 s38, 0x8eee2c13
	;; [unrolled: 1-line block ×4, first 2 shown]
	v_add_nc_u32_e32 v218, v1, v210
	s_mov_b32 s34, 0xfd768dbf
	s_mov_b32 s21, 0xbfe14ced
	;; [unrolled: 1-line block ×15, first 2 shown]
	s_wait_alu 0xfffe
	s_mov_b32 s24, s18
	s_mov_b32 s29, 0x3fed1bb4
	;; [unrolled: 1-line block ×8, first 2 shown]
	s_wait_loadcnt_dscnt 0x600
	v_mul_f64_e32 v[181:182], v[175:176], v[151:152]
	v_mul_f64_e32 v[151:152], v[173:174], v[151:152]
	s_delay_alu instid0(VALU_DEP_2) | instskip(NEXT) | instid1(VALU_DEP_2)
	v_fma_f64 v[173:174], v[173:174], v[149:150], -v[181:182]
	v_fma_f64 v[175:176], v[175:176], v[149:150], v[151:152]
	ds_store_b128 v255, v[173:176]
	ds_load_b128 v[149:152], v0 offset:512
	ds_load_b128 v[173:176], v0 offset:1024
	scratch_store_b32 off, v1, off offset:204 ; 4-byte Folded Spill
	s_wait_loadcnt_dscnt 0x501
	v_mul_f64_e32 v[181:182], v[151:152], v[155:156]
	v_mul_f64_e32 v[155:156], v[149:150], v[155:156]
	s_delay_alu instid0(VALU_DEP_2) | instskip(SKIP_3) | instid1(VALU_DEP_4)
	v_fma_f64 v[149:150], v[149:150], v[153:154], -v[181:182]
	s_wait_loadcnt_dscnt 0x400
	v_mul_f64_e32 v[181:182], v[175:176], v[159:160]
	v_mul_f64_e32 v[159:160], v[173:174], v[159:160]
	v_fma_f64 v[151:152], v[151:152], v[153:154], v[155:156]
	ds_load_b128 v[153:156], v0 offset:1536
	v_fma_f64 v[173:174], v[173:174], v[157:158], -v[181:182]
	v_fma_f64 v[175:176], v[175:176], v[157:158], v[159:160]
	ds_load_b128 v[157:160], v0 offset:2048
	s_wait_loadcnt_dscnt 0x301
	v_mul_f64_e32 v[181:182], v[155:156], v[163:164]
	v_mul_f64_e32 v[163:164], v[153:154], v[163:164]
	s_delay_alu instid0(VALU_DEP_2) | instskip(SKIP_3) | instid1(VALU_DEP_4)
	v_fma_f64 v[153:154], v[153:154], v[161:162], -v[181:182]
	s_wait_loadcnt_dscnt 0x200
	v_mul_f64_e32 v[181:182], v[159:160], v[167:168]
	v_mul_f64_e32 v[167:168], v[157:158], v[167:168]
	v_fma_f64 v[155:156], v[155:156], v[161:162], v[163:164]
	ds_load_b128 v[161:164], v218 offset:2560
	v_fma_f64 v[157:158], v[157:158], v[165:166], -v[181:182]
	v_fma_f64 v[159:160], v[159:160], v[165:166], v[167:168]
	ds_load_b128 v[165:168], v0 offset:5120
	s_wait_loadcnt_dscnt 0x101
	v_mul_f64_e32 v[181:182], v[163:164], v[171:172]
	v_mul_f64_e32 v[171:172], v[161:162], v[171:172]
	s_delay_alu instid0(VALU_DEP_2) | instskip(NEXT) | instid1(VALU_DEP_2)
	v_fma_f64 v[161:162], v[161:162], v[169:170], -v[181:182]
	v_fma_f64 v[163:164], v[163:164], v[169:170], v[171:172]
	ds_load_b128 v[169:172], v0 offset:3072
	ds_load_b128 v[181:184], v0 offset:3584
	s_wait_loadcnt_dscnt 0x1
	v_mul_f64_e32 v[185:186], v[171:172], v[179:180]
	v_mul_f64_e32 v[179:180], v[169:170], v[179:180]
	s_delay_alu instid0(VALU_DEP_2) | instskip(NEXT) | instid1(VALU_DEP_2)
	v_fma_f64 v[169:170], v[169:170], v[177:178], -v[185:186]
	v_fma_f64 v[171:172], v[171:172], v[177:178], v[179:180]
	s_clause 0x1
	global_load_b128 v[177:180], v210, s[8:9] offset:3584
	global_load_b128 v[185:188], v210, s[8:9] offset:4096
	s_wait_loadcnt_dscnt 0x100
	v_mul_f64_e32 v[189:190], v[183:184], v[179:180]
	v_mul_f64_e32 v[191:192], v[181:182], v[179:180]
	s_delay_alu instid0(VALU_DEP_2) | instskip(NEXT) | instid1(VALU_DEP_2)
	v_fma_f64 v[179:180], v[181:182], v[177:178], -v[189:190]
	v_fma_f64 v[181:182], v[183:184], v[177:178], v[191:192]
	ds_load_b128 v[189:192], v0 offset:4096
	ds_load_b128 v[196:199], v0 offset:4608
	s_wait_loadcnt_dscnt 0x1
	v_mul_f64_e32 v[177:178], v[191:192], v[187:188]
	v_mul_f64_e32 v[187:188], v[189:190], v[187:188]
	s_delay_alu instid0(VALU_DEP_2) | instskip(NEXT) | instid1(VALU_DEP_2)
	v_fma_f64 v[183:184], v[189:190], v[185:186], -v[177:178]
	v_fma_f64 v[185:186], v[191:192], v[185:186], v[187:188]
	s_clause 0x1
	global_load_b128 v[187:190], v210, s[8:9] offset:4608
	global_load_b128 v[200:203], v210, s[8:9] offset:5120
	s_mov_b32 s8, 0x9bcd5057
	s_mov_b32 s9, 0xbfeeb42a
	s_wait_loadcnt_dscnt 0x100
	v_mul_f64_e32 v[177:178], v[198:199], v[189:190]
	v_mul_f64_e32 v[191:192], v[196:197], v[189:190]
	s_delay_alu instid0(VALU_DEP_2) | instskip(NEXT) | instid1(VALU_DEP_2)
	v_fma_f64 v[189:190], v[196:197], v[187:188], -v[177:178]
	v_fma_f64 v[191:192], v[198:199], v[187:188], v[191:192]
	s_wait_loadcnt 0x0
	v_mul_f64_e32 v[177:178], v[167:168], v[202:203]
	v_mul_f64_e32 v[187:188], v[165:166], v[202:203]
	s_delay_alu instid0(VALU_DEP_2) | instskip(NEXT) | instid1(VALU_DEP_2)
	v_fma_f64 v[165:166], v[165:166], v[200:201], -v[177:178]
	v_fma_f64 v[167:168], v[167:168], v[200:201], v[187:188]
	ds_store_b128 v0, v[149:152] offset:512
	ds_store_b128 v0, v[173:176] offset:1024
	;; [unrolled: 1-line block ×10, first 2 shown]
	global_wb scope:SCOPE_SE
	s_wait_storecnt_dscnt 0x0
	s_barrier_signal -1
	s_barrier_wait -1
	global_inv scope:SCOPE_SE
	ds_load_b128 v[149:152], v255
	ds_load_b128 v[153:156], v0 offset:512
	ds_load_b128 v[157:160], v0 offset:1024
	;; [unrolled: 1-line block ×3, first 2 shown]
	s_wait_dscnt 0x2
	v_add_f64_e32 v[165:166], v[149:150], v[153:154]
	v_add_f64_e32 v[167:168], v[151:152], v[155:156]
	s_wait_dscnt 0x1
	s_delay_alu instid0(VALU_DEP_2) | instskip(NEXT) | instid1(VALU_DEP_2)
	v_add_f64_e32 v[165:166], v[165:166], v[157:158]
	v_add_f64_e32 v[167:168], v[167:168], v[159:160]
	s_wait_dscnt 0x0
	s_delay_alu instid0(VALU_DEP_2) | instskip(NEXT) | instid1(VALU_DEP_2)
	v_add_f64_e32 v[173:174], v[165:166], v[161:162]
	v_add_f64_e32 v[175:176], v[167:168], v[163:164]
	ds_load_b128 v[165:168], v0 offset:2048
	ds_load_b128 v[169:172], v0 offset:3072
	s_wait_dscnt 0x1
	v_add_f64_e32 v[177:178], v[173:174], v[165:166]
	v_add_f64_e32 v[179:180], v[175:176], v[167:168]
	ds_load_b128 v[173:176], v218 offset:2560
	s_wait_dscnt 0x0
	v_add_f64_e32 v[189:190], v[173:174], v[169:170]
	v_add_f64_e32 v[181:182], v[175:176], v[171:172]
	v_add_f64_e64 v[191:192], v[173:174], -v[169:170]
	v_add_f64_e64 v[183:184], v[175:176], -v[171:172]
	v_add_f64_e32 v[177:178], v[177:178], v[173:174]
	v_add_f64_e32 v[179:180], v[179:180], v[175:176]
	s_delay_alu instid0(VALU_DEP_3)
	v_mul_f64_e32 v[1:2], s[34:35], v[183:184]
	s_wait_alu 0xfffe
	v_mul_f64_e32 v[17:18], s[30:31], v[183:184]
	v_mul_f64_e32 v[29:30], s[18:19], v[183:184]
	v_add_f64_e32 v[177:178], v[177:178], v[169:170]
	v_add_f64_e32 v[179:180], v[179:180], v[171:172]
	ds_load_b128 v[169:172], v0 offset:3584
	ds_load_b128 v[173:176], v0 offset:4096
	s_wait_dscnt 0x1
	v_add_f64_e32 v[196:197], v[165:166], v[169:170]
	v_add_f64_e32 v[185:186], v[167:168], v[171:172]
	v_add_f64_e64 v[187:188], v[167:168], -v[171:172]
	v_add_f64_e64 v[198:199], v[165:166], -v[169:170]
	s_wait_dscnt 0x0
	v_add_f64_e32 v[200:201], v[161:162], v[173:174]
	v_add_f64_e64 v[202:203], v[161:162], -v[173:174]
	v_fma_f64 v[3:4], v[189:190], s[8:9], -v[1:2]
	v_fma_f64 v[19:20], v[189:190], s[16:17], v[17:18]
	v_fma_f64 v[31:32], v[189:190], s[10:11], v[29:30]
	;; [unrolled: 1-line block ×3, first 2 shown]
	v_add_f64_e32 v[165:166], v[177:178], v[169:170]
	v_add_f64_e32 v[167:168], v[179:180], v[171:172]
	v_add_f64_e64 v[169:170], v[163:164], -v[175:176]
	v_add_f64_e32 v[171:172], v[163:164], v[175:176]
	v_mul_f64_e32 v[194:195], s[10:11], v[185:186]
	v_mul_f64_e32 v[209:210], s[18:19], v[187:188]
	;; [unrolled: 1-line block ×5, first 2 shown]
	v_add_f64_e32 v[173:174], v[165:166], v[173:174]
	v_add_f64_e32 v[175:176], v[167:168], v[175:176]
	ds_load_b128 v[161:164], v0 offset:4608
	ds_load_b128 v[165:168], v0 offset:5120
	v_mul_f64_e32 v[214:215], s[36:37], v[169:170]
	v_mul_f64_e32 v[216:217], s[12:13], v[171:172]
	;; [unrolled: 1-line block ×5, first 2 shown]
	global_wb scope:SCOPE_SE
	s_wait_dscnt 0x0
	s_barrier_signal -1
	s_barrier_wait -1
	global_inv scope:SCOPE_SE
	v_add_f64_e64 v[177:178], v[159:160], -v[163:164]
	v_add_f64_e32 v[179:180], v[159:160], v[163:164]
	v_add_f64_e32 v[204:205], v[157:158], v[161:162]
	v_add_f64_e64 v[206:207], v[157:158], -v[161:162]
	v_fma_f64 v[15:16], v[196:197], s[12:13], v[13:14]
	v_fma_f64 v[27:28], v[196:197], s[16:17], v[25:26]
	;; [unrolled: 1-line block ×3, first 2 shown]
	v_add_f64_e32 v[157:158], v[173:174], v[161:162]
	v_add_f64_e32 v[159:160], v[175:176], v[163:164]
	v_add_f64_e64 v[161:162], v[155:156], -v[167:168]
	v_add_f64_e32 v[163:164], v[155:156], v[167:168]
	v_add_f64_e32 v[173:174], v[153:154], v[165:166]
	v_add_f64_e64 v[175:176], v[153:154], -v[165:166]
	v_fma_f64 v[11:12], v[202:203], s[34:35], v[9:10]
	v_fma_f64 v[23:24], v[202:203], s[38:39], v[21:22]
	;; [unrolled: 1-line block ×5, first 2 shown]
	v_mul_f64_e32 v[253:254], s[38:39], v[177:178]
	v_mul_f64_e32 v[212:213], s[14:15], v[179:180]
	;; [unrolled: 1-line block ×4, first 2 shown]
	v_add_f64_e32 v[153:154], v[157:158], v[165:166]
	v_add_f64_e32 v[155:156], v[159:160], v[167:168]
	v_mul_f64_e32 v[157:158], s[20:21], v[161:162]
	v_mul_f64_e32 v[159:160], s[38:39], v[161:162]
	;; [unrolled: 1-line block ×8, first 2 shown]
	v_fma_f64 v[7:8], v[204:205], s[10:11], v[5:6]
	v_fma_f64 v[35:36], v[206:207], s[36:37], v[33:34]
	;; [unrolled: 1-line block ×3, first 2 shown]
	v_fma_f64 v[5:6], v[204:205], s[10:11], -v[5:6]
	v_fma_f64 v[219:220], v[173:174], s[16:17], v[157:158]
	v_fma_f64 v[157:158], v[173:174], s[16:17], -v[157:158]
	v_fma_f64 v[221:222], v[173:174], s[14:15], v[159:160]
	v_fma_f64 v[159:160], v[173:174], s[14:15], -v[159:160]
	v_fma_f64 v[223:224], v[173:174], s[12:13], v[165:166]
	v_fma_f64 v[165:166], v[173:174], s[12:13], -v[165:166]
	v_fma_f64 v[225:226], v[173:174], s[10:11], v[167:168]
	v_fma_f64 v[167:168], v[173:174], s[10:11], -v[167:168]
	v_fma_f64 v[227:228], v[173:174], s[8:9], v[161:162]
	v_fma_f64 v[161:162], v[173:174], s[8:9], -v[161:162]
	v_mul_f64_e32 v[173:174], s[14:15], v[163:164]
	v_mul_f64_e32 v[163:164], s[16:17], v[163:164]
	v_fma_f64 v[239:240], v[175:176], s[24:25], v[231:232]
	v_fma_f64 v[237:238], v[175:176], s[26:27], v[229:230]
	;; [unrolled: 1-line block ×6, first 2 shown]
	v_add_f64_e32 v[219:220], v[149:150], v[219:220]
	v_add_f64_e32 v[157:158], v[149:150], v[157:158]
	;; [unrolled: 1-line block ×8, first 2 shown]
	v_fma_f64 v[235:236], v[175:176], s[28:29], v[173:174]
	v_fma_f64 v[243:244], v[175:176], s[20:21], v[163:164]
	;; [unrolled: 1-line block ×4, first 2 shown]
	v_add_f64_e32 v[225:226], v[151:152], v[239:240]
	v_add_f64_e32 v[239:240], v[149:150], v[167:168]
	v_add_f64_e32 v[237:238], v[151:152], v[237:238]
	v_add_f64_e32 v[241:242], v[151:152], v[241:242]
	v_add_f64_e32 v[233:234], v[151:152], v[233:234]
	v_add_f64_e32 v[231:232], v[151:152], v[231:232]
	v_add_f64_e32 v[229:230], v[151:152], v[229:230]
	v_add_f64_e32 v[7:8], v[7:8], v[221:222]
	v_mul_f64_e32 v[221:222], s[10:11], v[179:180]
	v_add_f64_e32 v[235:236], v[151:152], v[235:236]
	v_add_f64_e32 v[175:176], v[151:152], v[243:244]
	;; [unrolled: 1-line block ×3, first 2 shown]
	v_fma_f64 v[149:150], v[204:205], s[14:15], -v[253:254]
	v_add_f64_e32 v[249:250], v[151:152], v[173:174]
	v_add_f64_e32 v[251:252], v[151:152], v[163:164]
	v_fma_f64 v[151:152], v[206:207], s[38:39], v[212:213]
	v_add_f64_e32 v[35:36], v[35:36], v[225:226]
	v_mul_f64_e32 v[225:226], s[20:21], v[169:170]
	v_add_f64_e32 v[33:34], v[33:34], v[231:232]
	v_add_f64_e32 v[5:6], v[5:6], v[243:244]
	;; [unrolled: 1-line block ×3, first 2 shown]
	v_fma_f64 v[157:158], v[200:201], s[12:13], -v[214:215]
	v_add_f64_e32 v[151:152], v[151:152], v[175:176]
	v_add_f64_e32 v[35:36], v[39:40], v[35:36]
	v_mul_f64_e32 v[39:40], s[34:35], v[187:188]
	v_mul_f64_e32 v[175:176], s[16:17], v[179:180]
	v_add_f64_e32 v[149:150], v[157:158], v[149:150]
	v_fma_f64 v[157:158], v[202:203], s[36:37], v[216:217]
	v_add_f64_e32 v[35:36], v[43:44], v[35:36]
	v_mul_f64_e32 v[43:44], s[28:29], v[183:184]
	v_mul_f64_e32 v[183:184], s[36:37], v[183:184]
	s_delay_alu instid0(VALU_DEP_4) | instskip(SKIP_1) | instid1(VALU_DEP_1)
	v_add_f64_e32 v[151:152], v[157:158], v[151:152]
	v_fma_f64 v[157:158], v[196:197], s[10:11], -v[209:210]
	v_add_f64_e32 v[149:150], v[157:158], v[149:150]
	v_fma_f64 v[157:158], v[198:199], s[18:19], v[194:195]
	s_delay_alu instid0(VALU_DEP_2) | instskip(SKIP_1) | instid1(VALU_DEP_3)
	v_add_f64_e32 v[149:150], v[3:4], v[149:150]
	v_mul_f64_e32 v[3:4], s[8:9], v[181:182]
	v_add_f64_e32 v[151:152], v[157:158], v[151:152]
	s_delay_alu instid0(VALU_DEP_2) | instskip(SKIP_1) | instid1(VALU_DEP_2)
	v_fma_f64 v[157:158], v[191:192], s[34:35], v[3:4]
	v_fma_f64 v[3:4], v[191:192], s[22:23], v[3:4]
	v_add_f64_e32 v[151:152], v[157:158], v[151:152]
	v_fma_f64 v[157:158], v[206:207], s[24:25], v[221:222]
	s_delay_alu instid0(VALU_DEP_1) | instskip(SKIP_1) | instid1(VALU_DEP_2)
	v_add_f64_e32 v[157:158], v[157:158], v[235:236]
	v_mul_f64_e32 v[235:236], s[22:23], v[169:170]
	v_add_f64_e32 v[11:12], v[11:12], v[157:158]
	s_delay_alu instid0(VALU_DEP_2) | instskip(NEXT) | instid1(VALU_DEP_1)
	v_fma_f64 v[159:160], v[200:201], s[8:9], v[235:236]
	v_add_f64_e32 v[7:8], v[159:160], v[7:8]
	s_delay_alu instid0(VALU_DEP_1) | instskip(SKIP_1) | instid1(VALU_DEP_1)
	v_add_f64_e32 v[7:8], v[15:16], v[7:8]
	v_mul_f64_e32 v[15:16], s[12:13], v[185:186]
	v_fma_f64 v[157:158], v[198:199], s[36:37], v[15:16]
	s_delay_alu instid0(VALU_DEP_1) | instskip(NEXT) | instid1(VALU_DEP_4)
	v_add_f64_e32 v[11:12], v[157:158], v[11:12]
	v_add_f64_e32 v[157:158], v[19:20], v[7:8]
	v_mul_f64_e32 v[7:8], s[16:17], v[181:182]
	s_delay_alu instid0(VALU_DEP_1) | instskip(SKIP_1) | instid1(VALU_DEP_2)
	v_fma_f64 v[19:20], v[191:192], s[20:21], v[7:8]
	v_fma_f64 v[7:8], v[191:192], s[30:31], v[7:8]
	v_add_f64_e32 v[159:160], v[19:20], v[11:12]
	v_mul_f64_e32 v[11:12], s[22:23], v[177:178]
	s_delay_alu instid0(VALU_DEP_1) | instskip(SKIP_1) | instid1(VALU_DEP_2)
	v_fma_f64 v[19:20], v[204:205], s[8:9], v[11:12]
	v_fma_f64 v[11:12], v[204:205], s[8:9], -v[11:12]
	v_add_f64_e32 v[19:20], v[19:20], v[223:224]
	v_mul_f64_e32 v[223:224], s[8:9], v[179:180]
	v_mul_f64_e32 v[179:180], s[18:19], v[169:170]
	s_delay_alu instid0(VALU_DEP_4) | instskip(NEXT) | instid1(VALU_DEP_3)
	v_add_f64_e32 v[11:12], v[11:12], v[245:246]
	v_fma_f64 v[161:162], v[206:207], s[34:35], v[223:224]
	s_delay_alu instid0(VALU_DEP_1) | instskip(SKIP_3) | instid1(VALU_DEP_4)
	v_add_f64_e32 v[161:162], v[161:162], v[237:238]
	v_mul_f64_e32 v[237:238], s[28:29], v[169:170]
	v_fma_f64 v[169:170], v[200:201], s[10:11], v[179:180]
	v_fma_f64 v[179:180], v[200:201], s[10:11], -v[179:180]
	v_add_f64_e32 v[23:24], v[23:24], v[161:162]
	s_delay_alu instid0(VALU_DEP_4) | instskip(NEXT) | instid1(VALU_DEP_1)
	v_fma_f64 v[163:164], v[200:201], s[14:15], v[237:238]
	v_add_f64_e32 v[19:20], v[163:164], v[19:20]
	s_delay_alu instid0(VALU_DEP_1) | instskip(SKIP_2) | instid1(VALU_DEP_2)
	v_add_f64_e32 v[19:20], v[27:28], v[19:20]
	v_mul_f64_e32 v[27:28], s[16:17], v[185:186]
	v_mul_f64_e32 v[185:186], s[14:15], v[185:186]
	v_fma_f64 v[161:162], v[198:199], s[30:31], v[27:28]
	s_delay_alu instid0(VALU_DEP_1) | instskip(SKIP_2) | instid1(VALU_DEP_1)
	v_add_f64_e32 v[23:24], v[161:162], v[23:24]
	v_add_f64_e32 v[161:162], v[31:32], v[19:20]
	v_mul_f64_e32 v[19:20], s[10:11], v[181:182]
	v_fma_f64 v[31:32], v[191:192], s[24:25], v[19:20]
	v_fma_f64 v[19:20], v[191:192], s[18:19], v[19:20]
	s_delay_alu instid0(VALU_DEP_2) | instskip(SKIP_1) | instid1(VALU_DEP_1)
	v_add_f64_e32 v[163:164], v[31:32], v[23:24]
	v_mul_f64_e32 v[23:24], s[26:27], v[177:178]
	v_fma_f64 v[31:32], v[204:205], s[12:13], v[23:24]
	v_fma_f64 v[23:24], v[204:205], s[12:13], -v[23:24]
	s_delay_alu instid0(VALU_DEP_2) | instskip(SKIP_1) | instid1(VALU_DEP_3)
	v_add_f64_e32 v[31:32], v[31:32], v[165:166]
	v_fma_f64 v[165:166], v[200:201], s[16:17], v[225:226]
	v_add_f64_e32 v[23:24], v[23:24], v[239:240]
	s_delay_alu instid0(VALU_DEP_2) | instskip(SKIP_1) | instid1(VALU_DEP_1)
	v_add_f64_e32 v[31:32], v[165:166], v[31:32]
	v_fma_f64 v[165:166], v[196:197], s[8:9], v[39:40]
	v_add_f64_e32 v[31:32], v[165:166], v[31:32]
	v_fma_f64 v[165:166], v[189:190], s[14:15], v[43:44]
	s_delay_alu instid0(VALU_DEP_1) | instskip(SKIP_2) | instid1(VALU_DEP_2)
	v_add_f64_e32 v[165:166], v[165:166], v[31:32]
	v_mul_f64_e32 v[31:32], s[14:15], v[181:182]
	v_mul_f64_e32 v[181:182], s[12:13], v[181:182]
	v_fma_f64 v[167:168], v[191:192], s[38:39], v[31:32]
	v_fma_f64 v[31:32], v[191:192], s[28:29], v[31:32]
	s_delay_alu instid0(VALU_DEP_2) | instskip(SKIP_3) | instid1(VALU_DEP_3)
	v_add_f64_e32 v[167:168], v[167:168], v[35:36]
	v_mul_f64_e32 v[35:36], s[30:31], v[177:178]
	v_fma_f64 v[177:178], v[206:207], s[20:21], v[175:176]
	v_fma_f64 v[175:176], v[206:207], s[30:31], v[175:176]
	;; [unrolled: 1-line block ×3, first 2 shown]
	s_delay_alu instid0(VALU_DEP_3) | instskip(SKIP_1) | instid1(VALU_DEP_4)
	v_add_f64_e32 v[177:178], v[177:178], v[241:242]
	v_fma_f64 v[35:36], v[204:205], s[16:17], -v[35:36]
	v_add_f64_e32 v[175:176], v[175:176], v[233:234]
	s_delay_alu instid0(VALU_DEP_4) | instskip(NEXT) | instid1(VALU_DEP_3)
	v_add_f64_e32 v[173:174], v[173:174], v[227:228]
	v_add_f64_e32 v[35:36], v[35:36], v[247:248]
	s_delay_alu instid0(VALU_DEP_2) | instskip(SKIP_1) | instid1(VALU_DEP_3)
	v_add_f64_e32 v[169:170], v[169:170], v[173:174]
	v_mul_f64_e32 v[173:174], s[10:11], v[171:172]
	v_add_f64_e32 v[35:36], v[179:180], v[35:36]
	s_delay_alu instid0(VALU_DEP_2) | instskip(SKIP_1) | instid1(VALU_DEP_2)
	v_fma_f64 v[171:172], v[202:203], s[24:25], v[173:174]
	v_fma_f64 v[173:174], v[202:203], s[18:19], v[173:174]
	v_add_f64_e32 v[171:172], v[171:172], v[177:178]
	v_mul_f64_e32 v[177:178], s[28:29], v[187:188]
	s_delay_alu instid0(VALU_DEP_3) | instskip(NEXT) | instid1(VALU_DEP_2)
	v_add_f64_e32 v[173:174], v[173:174], v[175:176]
	v_fma_f64 v[175:176], v[196:197], s[14:15], -v[177:178]
	v_fma_f64 v[187:188], v[196:197], s[14:15], v[177:178]
	v_fma_f64 v[177:178], v[191:192], s[36:37], v[181:182]
	s_delay_alu instid0(VALU_DEP_3) | instskip(SKIP_1) | instid1(VALU_DEP_4)
	v_add_f64_e32 v[35:36], v[175:176], v[35:36]
	v_fma_f64 v[175:176], v[198:199], s[28:29], v[185:186]
	v_add_f64_e32 v[169:170], v[187:188], v[169:170]
	v_fma_f64 v[187:188], v[198:199], s[38:39], v[185:186]
	s_delay_alu instid0(VALU_DEP_3) | instskip(SKIP_1) | instid1(VALU_DEP_3)
	v_add_f64_e32 v[175:176], v[175:176], v[173:174]
	v_fma_f64 v[173:174], v[189:190], s[12:13], -v[183:184]
	v_add_f64_e32 v[171:172], v[187:188], v[171:172]
	v_fma_f64 v[187:188], v[189:190], s[12:13], v[183:184]
	s_delay_alu instid0(VALU_DEP_4) | instskip(NEXT) | instid1(VALU_DEP_4)
	v_add_f64_e32 v[175:176], v[177:178], v[175:176]
	v_add_f64_e32 v[173:174], v[173:174], v[35:36]
	v_fma_f64 v[35:36], v[200:201], s[16:17], -v[225:226]
	s_delay_alu instid0(VALU_DEP_4) | instskip(SKIP_1) | instid1(VALU_DEP_3)
	v_add_f64_e32 v[169:170], v[187:188], v[169:170]
	v_fma_f64 v[187:188], v[191:192], s[26:27], v[181:182]
	v_add_f64_e32 v[23:24], v[35:36], v[23:24]
	v_fma_f64 v[35:36], v[202:203], s[20:21], v[37:38]
	s_delay_alu instid0(VALU_DEP_3) | instskip(NEXT) | instid1(VALU_DEP_2)
	v_add_f64_e32 v[171:172], v[187:188], v[171:172]
	v_add_f64_e32 v[33:34], v[35:36], v[33:34]
	v_fma_f64 v[35:36], v[196:197], s[8:9], -v[39:40]
	s_delay_alu instid0(VALU_DEP_1) | instskip(SKIP_1) | instid1(VALU_DEP_1)
	v_add_f64_e32 v[23:24], v[35:36], v[23:24]
	v_fma_f64 v[35:36], v[198:199], s[34:35], v[41:42]
	v_add_f64_e32 v[33:34], v[35:36], v[33:34]
	v_fma_f64 v[35:36], v[189:190], s[14:15], -v[43:44]
	s_delay_alu instid0(VALU_DEP_2) | instskip(NEXT) | instid1(VALU_DEP_2)
	v_add_f64_e32 v[179:180], v[31:32], v[33:34]
	v_add_f64_e32 v[177:178], v[35:36], v[23:24]
	v_fma_f64 v[23:24], v[206:207], s[22:23], v[223:224]
	v_fma_f64 v[31:32], v[200:201], s[14:15], -v[237:238]
	s_delay_alu instid0(VALU_DEP_2) | instskip(NEXT) | instid1(VALU_DEP_2)
	v_add_f64_e32 v[23:24], v[23:24], v[229:230]
	v_add_f64_e32 v[11:12], v[31:32], v[11:12]
	s_delay_alu instid0(VALU_DEP_2) | instskip(SKIP_1) | instid1(VALU_DEP_1)
	v_add_f64_e32 v[21:22], v[21:22], v[23:24]
	v_fma_f64 v[23:24], v[196:197], s[16:17], -v[25:26]
	v_add_f64_e32 v[11:12], v[23:24], v[11:12]
	v_fma_f64 v[23:24], v[198:199], s[20:21], v[27:28]
	s_delay_alu instid0(VALU_DEP_1) | instskip(SKIP_1) | instid1(VALU_DEP_2)
	v_add_f64_e32 v[21:22], v[23:24], v[21:22]
	v_fma_f64 v[23:24], v[189:190], s[10:11], -v[29:30]
	v_add_f64_e32 v[183:184], v[19:20], v[21:22]
	s_delay_alu instid0(VALU_DEP_2) | instskip(SKIP_2) | instid1(VALU_DEP_2)
	v_add_f64_e32 v[181:182], v[23:24], v[11:12]
	v_fma_f64 v[11:12], v[206:207], s[18:19], v[221:222]
	v_fma_f64 v[19:20], v[200:201], s[8:9], -v[235:236]
	v_add_f64_e32 v[11:12], v[11:12], v[249:250]
	s_delay_alu instid0(VALU_DEP_2) | instskip(NEXT) | instid1(VALU_DEP_2)
	v_add_f64_e32 v[5:6], v[19:20], v[5:6]
	v_add_f64_e32 v[9:10], v[9:10], v[11:12]
	v_fma_f64 v[11:12], v[196:197], s[12:13], -v[13:14]
	v_fma_f64 v[13:14], v[196:197], s[10:11], v[209:210]
	s_delay_alu instid0(VALU_DEP_2) | instskip(SKIP_2) | instid1(VALU_DEP_2)
	v_add_f64_e32 v[5:6], v[11:12], v[5:6]
	v_fma_f64 v[11:12], v[198:199], s[26:27], v[15:16]
	v_fma_f64 v[15:16], v[198:199], s[24:25], v[194:195]
	v_add_f64_e32 v[9:10], v[11:12], v[9:10]
	v_fma_f64 v[11:12], v[189:190], s[16:17], -v[17:18]
	s_delay_alu instid0(VALU_DEP_2) | instskip(NEXT) | instid1(VALU_DEP_2)
	v_add_f64_e32 v[187:188], v[7:8], v[9:10]
	v_add_f64_e32 v[185:186], v[11:12], v[5:6]
	v_fma_f64 v[5:6], v[204:205], s[14:15], v[253:254]
	v_fma_f64 v[7:8], v[206:207], s[28:29], v[212:213]
	;; [unrolled: 1-line block ×4, first 2 shown]
	s_delay_alu instid0(VALU_DEP_4) | instskip(NEXT) | instid1(VALU_DEP_4)
	v_add_f64_e32 v[5:6], v[5:6], v[219:220]
	v_add_f64_e32 v[7:8], v[7:8], v[251:252]
	s_delay_alu instid0(VALU_DEP_2) | instskip(NEXT) | instid1(VALU_DEP_2)
	v_add_f64_e32 v[5:6], v[9:10], v[5:6]
	v_add_f64_e32 v[7:8], v[11:12], v[7:8]
	s_delay_alu instid0(VALU_DEP_2) | instskip(NEXT) | instid1(VALU_DEP_2)
	v_add_f64_e32 v[5:6], v[13:14], v[5:6]
	v_add_f64_e32 v[7:8], v[15:16], v[7:8]
	s_delay_alu instid0(VALU_DEP_2) | instskip(NEXT) | instid1(VALU_DEP_2)
	v_add_f64_e32 v[189:190], v[1:2], v[5:6]
	v_add_f64_e32 v[191:192], v[3:4], v[7:8]
	ds_store_b128 v211, v[157:160] offset:32
	ds_store_b128 v211, v[161:164] offset:48
	;; [unrolled: 1-line block ×10, first 2 shown]
	ds_store_b128 v211, v[153:156]
	global_wb scope:SCOPE_SE
	s_wait_dscnt 0x0
	s_barrier_signal -1
	s_barrier_wait -1
	global_inv scope:SCOPE_SE
	ds_load_b128 v[157:160], v255
	ds_load_b128 v[161:164], v0 offset:512
	ds_load_b128 v[153:156], v0 offset:3328
	ds_load_b128 v[165:168], v0 offset:3840
	ds_load_b128 v[173:176], v0 offset:1024
	ds_load_b128 v[169:172], v0 offset:1536
	ds_load_b128 v[189:192], v0 offset:2816
	ds_load_b128 v[177:180], v0 offset:2048
	ds_load_b128 v[185:188], v0 offset:4352
	ds_load_b128 v[181:184], v0 offset:4864
	s_and_saveexec_b32 s1, vcc_lo
	s_cbranch_execz .LBB0_11
; %bb.10:
	ds_load_b128 v[149:152], v218 offset:2560
	ds_load_b128 v[145:148], v0 offset:5376
.LBB0_11:
	s_wait_alu 0xfffe
	s_or_b32 exec_lo, exec_lo, s1
	s_wait_dscnt 0x3
	v_mul_f64_e32 v[1:2], v[59:60], v[191:192]
	s_wait_dscnt 0x0
	v_mul_f64_e32 v[17:18], v[55:56], v[183:184]
	v_mul_f64_e32 v[19:20], v[55:56], v[181:182]
	global_wb scope:SCOPE_SE
	s_barrier_signal -1
	s_barrier_wait -1
	global_inv scope:SCOPE_SE
	v_mul_f64_e32 v[3:4], v[59:60], v[189:190]
	v_mul_f64_e32 v[21:22], v[51:52], v[147:148]
	;; [unrolled: 1-line block ×9, first 2 shown]
	v_fma_f64 v[1:2], v[57:58], v[189:190], v[1:2]
	v_fma_f64 v[17:18], v[53:54], v[181:182], v[17:18]
	v_fma_f64 v[19:20], v[53:54], v[183:184], -v[19:20]
	v_fma_f64 v[3:4], v[57:58], v[191:192], -v[3:4]
	v_fma_f64 v[21:22], v[49:50], v[145:146], v[21:22]
	v_fma_f64 v[23:24], v[49:50], v[147:148], -v[23:24]
	v_fma_f64 v[5:6], v[61:62], v[153:154], v[5:6]
	v_fma_f64 v[7:8], v[61:62], v[155:156], -v[7:8]
	v_fma_f64 v[9:10], v[65:66], v[165:166], v[9:10]
	v_fma_f64 v[11:12], v[65:66], v[167:168], -v[11:12]
	v_fma_f64 v[13:14], v[69:70], v[185:186], v[13:14]
	v_fma_f64 v[15:16], v[69:70], v[187:188], -v[15:16]
	v_add_f64_e64 v[53:54], v[157:158], -v[1:2]
	scratch_load_b32 v1, off, off offset:200 th:TH_LOAD_LU ; 4-byte Folded Reload
	v_add_f64_e64 v[153:154], v[177:178], -v[17:18]
	v_add_f64_e64 v[155:156], v[179:180], -v[19:20]
	v_add_f64_e64 v[55:56], v[159:160], -v[3:4]
	v_add_f64_e64 v[165:166], v[149:150], -v[21:22]
	v_add_f64_e64 v[167:168], v[151:152], -v[23:24]
	v_add_f64_e64 v[57:58], v[161:162], -v[5:6]
	v_add_f64_e64 v[59:60], v[163:164], -v[7:8]
	v_add_f64_e64 v[61:62], v[173:174], -v[9:10]
	v_add_f64_e64 v[63:64], v[175:176], -v[11:12]
	v_add_f64_e64 v[145:146], v[169:170], -v[13:14]
	v_add_f64_e64 v[147:148], v[171:172], -v[15:16]
	v_fma_f64 v[49:50], v[157:158], 2.0, -v[53:54]
	v_fma_f64 v[51:52], v[159:160], 2.0, -v[55:56]
	;; [unrolled: 1-line block ×12, first 2 shown]
	s_wait_loadcnt 0x0
	ds_store_b128 v1, v[49:52]
	ds_store_b128 v1, v[53:56] offset:176
	scratch_load_b32 v1, off, off offset:196 th:TH_LOAD_LU ; 4-byte Folded Reload
	s_wait_loadcnt 0x0
	ds_store_b128 v1, v[65:68]
	ds_store_b128 v1, v[57:60] offset:176
	scratch_load_b32 v1, off, off offset:188 th:TH_LOAD_LU ; 4-byte Folded Reload
	;; [unrolled: 4-line block ×4, first 2 shown]
	s_wait_loadcnt 0x0
	ds_store_b128 v1, v[161:164]
	ds_store_b128 v1, v[153:156] offset:176
	s_and_saveexec_b32 s1, vcc_lo
	s_cbranch_execz .LBB0_13
; %bb.12:
	s_clause 0x1
	scratch_load_b32 v1, off, off offset:180 th:TH_LOAD_LU
	scratch_load_b32 v2, off, off offset:176 th:TH_LOAD_LU
	s_wait_loadcnt 0x1
	v_mul_u32_u24_e32 v1, 22, v1
	s_wait_loadcnt 0x0
	s_delay_alu instid0(VALU_DEP_1)
	v_add_nc_u32_e32 v1, v1, v2
	scratch_load_b32 v2, off, off offset:204 th:TH_LOAD_LU ; 4-byte Folded Reload
	s_wait_loadcnt 0x0
	v_lshl_add_u32 v1, v1, 4, v2
	ds_store_b128 v1, v[149:152]
	ds_store_b128 v1, v[165:168] offset:176
.LBB0_13:
	s_wait_alu 0xfffe
	s_or_b32 exec_lo, exec_lo, s1
	global_wb scope:SCOPE_SE
	s_wait_dscnt 0x0
	s_barrier_signal -1
	s_barrier_wait -1
	global_inv scope:SCOPE_SE
	s_and_saveexec_b32 s1, s0
	s_cbranch_execz .LBB0_15
; %bb.14:
	ds_load_b128 v[49:52], v255
	ds_load_b128 v[53:56], v0 offset:352
	ds_load_b128 v[65:68], v0 offset:704
	;; [unrolled: 1-line block ×15, first 2 shown]
.LBB0_15:
	s_wait_alu 0xfffe
	s_or_b32 exec_lo, exec_lo, s1
	s_and_saveexec_b32 s10, s0
	s_cbranch_execz .LBB0_17
; %bb.16:
	s_wait_dscnt 0xd
	v_mul_f64_e32 v[1:2], v[83:84], v[65:66]
	s_wait_dscnt 0x5
	v_mul_f64_e32 v[3:4], v[119:120], v[149:150]
	v_mul_f64_e32 v[5:6], v[99:100], v[159:160]
	s_wait_dscnt 0x1
	v_mul_f64_e32 v[7:8], v[123:124], v[143:144]
	v_mul_f64_e32 v[9:10], v[91:92], v[161:162]
	;; [unrolled: 1-line block ×11, first 2 shown]
	s_wait_dscnt 0x0
	v_mul_f64_e32 v[29:30], v[127:128], v[131:132]
	v_mul_f64_e32 v[31:32], v[47:48], v[53:54]
	;; [unrolled: 1-line block ×16, first 2 shown]
	s_mov_b32 s0, 0x667f3bcd
	s_mov_b32 s1, 0x3fe6a09e
	;; [unrolled: 1-line block ×3, first 2 shown]
	s_wait_alu 0xfffe
	s_mov_b32 s8, s0
	s_mov_b32 s14, 0xa6aea964
	;; [unrolled: 1-line block ×5, first 2 shown]
	v_fma_f64 v[1:2], v[81:82], v[67:68], -v[1:2]
	v_fma_f64 v[3:4], v[117:118], v[151:152], -v[3:4]
	v_fma_f64 v[5:6], v[97:98], v[157:158], v[5:6]
	v_fma_f64 v[7:8], v[121:122], v[141:142], v[7:8]
	v_fma_f64 v[9:10], v[89:90], v[163:164], -v[9:10]
	v_fma_f64 v[11:12], v[73:74], v[69:70], v[11:12]
	v_fma_f64 v[13:14], v[101:102], v[133:134], v[13:14]
	v_fma_f64 v[15:16], v[97:98], v[159:160], -v[15:16]
	v_fma_f64 v[17:18], v[121:122], v[143:144], -v[17:18]
	v_fma_f64 v[19:20], v[81:82], v[65:66], v[19:20]
	v_fma_f64 v[21:22], v[117:118], v[149:150], v[21:22]
	v_fma_f64 v[23:24], v[77:78], v[59:60], -v[23:24]
	;; [unrolled: 4-line block ×6, first 2 shown]
	v_fma_f64 v[61:62], v[101:102], v[135:136], -v[99:100]
	v_fma_f64 v[63:64], v[89:90], v[161:162], v[91:92]
	s_mov_b32 s17, 0x3fd87de2
	s_wait_alu 0xfffe
	s_mov_b32 s16, s14
	s_mov_b32 s19, 0xbfed906b
	;; [unrolled: 1-line block ×3, first 2 shown]
	v_add_f64_e64 v[3:4], v[1:2], -v[3:4]
	v_add_f64_e64 v[7:8], v[5:6], -v[7:8]
	;; [unrolled: 1-line block ×16, first 2 shown]
	v_fma_f64 v[1:2], v[1:2], 2.0, -v[3:4]
	v_add_f64_e64 v[67:68], v[3:4], -v[7:8]
	v_fma_f64 v[51:52], v[51:52], 2.0, -v[9:10]
	v_fma_f64 v[5:6], v[5:6], 2.0, -v[7:8]
	v_add_f64_e64 v[65:66], v[9:10], -v[13:14]
	v_fma_f64 v[11:12], v[11:12], 2.0, -v[13:14]
	v_fma_f64 v[15:16], v[15:16], 2.0, -v[17:18]
	v_add_f64_e32 v[69:70], v[17:18], v[21:22]
	v_fma_f64 v[19:20], v[19:20], 2.0, -v[21:22]
	v_fma_f64 v[13:14], v[23:24], 2.0, -v[25:26]
	v_add_f64_e64 v[73:74], v[25:26], -v[29:30]
	v_fma_f64 v[27:28], v[27:28], 2.0, -v[29:30]
	v_fma_f64 v[31:32], v[31:32], 2.0, -v[33:34]
	v_add_f64_e64 v[71:72], v[33:34], -v[37:38]
	v_fma_f64 v[17:18], v[35:36], 2.0, -v[37:38]
	v_fma_f64 v[23:24], v[39:40], 2.0, -v[41:42]
	v_add_f64_e32 v[75:76], v[41:42], v[55:56]
	v_fma_f64 v[43:44], v[43:44], 2.0, -v[55:56]
	v_fma_f64 v[57:58], v[57:58], 2.0, -v[59:60]
	v_add_f64_e32 v[77:78], v[59:60], v[47:48]
	;; [unrolled: 3-line block ×3, first 2 shown]
	v_fma_f64 v[35:36], v[49:50], 2.0, -v[63:64]
	v_fma_f64 v[3:4], v[3:4], 2.0, -v[67:68]
	;; [unrolled: 1-line block ×3, first 2 shown]
	v_fma_f64 v[41:42], v[67:68], s[0:1], v[65:66]
	v_add_f64_e64 v[15:16], v[1:2], -v[15:16]
	v_fma_f64 v[9:10], v[21:22], 2.0, -v[69:70]
	v_add_f64_e64 v[5:6], v[19:20], -v[5:6]
	v_fma_f64 v[25:26], v[25:26], 2.0, -v[73:74]
	v_fma_f64 v[21:22], v[33:34], 2.0, -v[71:72]
	v_fma_f64 v[45:46], v[73:74], s[0:1], v[71:72]
	v_add_f64_e64 v[23:24], v[13:14], -v[23:24]
	v_fma_f64 v[33:34], v[55:56], 2.0, -v[75:76]
	v_add_f64_e64 v[27:28], v[43:44], -v[27:28]
	v_add_f64_e64 v[49:50], v[31:32], -v[57:58]
	v_fma_f64 v[37:38], v[47:48], 2.0, -v[77:78]
	v_add_f64_e64 v[17:18], v[29:30], -v[17:18]
	;; [unrolled: 3-line block ×3, first 2 shown]
	v_fma_f64 v[53:54], v[75:76], s[0:1], v[77:78]
	v_fma_f64 v[55:56], v[69:70], s[0:1], v[79:80]
	;; [unrolled: 1-line block ×4, first 2 shown]
	v_fma_f64 v[1:2], v[1:2], 2.0, -v[15:16]
	v_fma_f64 v[19:20], v[19:20], 2.0, -v[5:6]
	v_fma_f64 v[59:60], v[25:26], s[8:9], v[21:22]
	v_fma_f64 v[45:46], v[75:76], s[8:9], v[45:46]
	v_fma_f64 v[13:14], v[13:14], 2.0, -v[23:24]
	v_fma_f64 v[43:44], v[43:44], 2.0, -v[27:28]
	;; [unrolled: 1-line block ×3, first 2 shown]
	v_add_f64_e64 v[27:28], v[49:50], -v[27:28]
	v_fma_f64 v[61:62], v[33:34], s[8:9], v[37:38]
	v_fma_f64 v[29:30], v[29:30], 2.0, -v[17:18]
	v_fma_f64 v[51:52], v[51:52], 2.0, -v[47:48]
	v_fma_f64 v[63:64], v[9:10], s[8:9], v[39:40]
	v_fma_f64 v[35:36], v[35:36], 2.0, -v[11:12]
	v_fma_f64 v[53:54], v[73:74], s[0:1], v[53:54]
	v_fma_f64 v[101:102], v[67:68], s[0:1], v[55:56]
	v_add_f64_e64 v[5:6], v[47:48], -v[5:6]
	v_add_f64_e32 v[23:24], v[23:24], v[17:18]
	v_add_f64_e32 v[15:16], v[11:12], v[15:16]
	v_fma_f64 v[9:10], v[9:10], s[8:9], v[57:58]
	v_fma_f64 v[81:82], v[65:66], 2.0, -v[41:42]
	v_fma_f64 v[33:34], v[33:34], s[8:9], v[59:60]
	v_fma_f64 v[57:58], v[71:72], 2.0, -v[45:46]
	v_add_f64_e64 v[13:14], v[31:32], -v[13:14]
	v_fma_f64 v[69:70], v[49:50], 2.0, -v[27:28]
	v_fma_f64 v[25:26], v[25:26], s[0:1], v[61:62]
	v_add_f64_e64 v[43:44], v[29:30], -v[43:44]
	v_add_f64_e64 v[1:2], v[51:52], -v[1:2]
	v_fma_f64 v[3:4], v[3:4], s[0:1], v[63:64]
	v_add_f64_e64 v[19:20], v[35:36], -v[19:20]
	v_fma_f64 v[59:60], v[77:78], 2.0, -v[53:54]
	v_fma_f64 v[77:78], v[79:80], 2.0, -v[101:102]
	;; [unrolled: 1-line block ×5, first 2 shown]
	v_fma_f64 v[47:48], v[45:46], s[12:13], v[41:42]
	v_fma_f64 v[49:50], v[27:28], s[0:1], v[5:6]
	;; [unrolled: 1-line block ×4, first 2 shown]
	v_fma_f64 v[7:8], v[7:8], 2.0, -v[9:10]
	v_fma_f64 v[21:22], v[21:22], 2.0, -v[33:34]
	v_fma_f64 v[61:62], v[57:58], s[14:15], v[81:82]
	s_wait_alu 0xfffe
	v_fma_f64 v[67:68], v[33:34], s[16:17], v[9:10]
	v_fma_f64 v[31:32], v[31:32], 2.0, -v[13:14]
	v_fma_f64 v[37:38], v[37:38], 2.0, -v[25:26]
	;; [unrolled: 1-line block ×6, first 2 shown]
	v_fma_f64 v[71:72], v[25:26], s[16:17], v[3:4]
	v_fma_f64 v[65:66], v[59:60], s[14:15], v[77:78]
	;; [unrolled: 1-line block ×3, first 2 shown]
	v_add_f64_e64 v[55:56], v[1:2], -v[43:44]
	v_fma_f64 v[87:88], v[17:18], s[8:9], v[11:12]
	v_fma_f64 v[47:48], v[53:54], s[14:15], v[47:48]
	v_add_f64_e32 v[53:54], v[19:20], v[13:14]
	v_fma_f64 v[51:52], v[23:24], s[8:9], v[49:50]
	v_fma_f64 v[49:50], v[27:28], s[0:1], v[73:74]
	v_fma_f64 v[45:46], v[45:46], s[16:17], v[75:76]
	v_fma_f64 v[83:84], v[21:22], s[18:19], v[7:8]
	v_fma_f64 v[59:60], v[59:60], s[18:19], v[61:62]
	v_fma_f64 v[67:68], v[25:26], s[18:19], v[67:68]
	v_add_f64_e64 v[63:64], v[89:90], -v[31:32]
	v_fma_f64 v[85:86], v[37:38], s[18:19], v[39:40]
	v_add_f64_e64 v[61:62], v[35:36], -v[29:30]
	v_fma_f64 v[57:58], v[57:58], s[12:13], v[65:66]
	v_fma_f64 v[65:66], v[33:34], s[12:13], v[71:72]
	;; [unrolled: 1-line block ×4, first 2 shown]
	v_fma_f64 v[87:88], v[1:2], 2.0, -v[55:56]
	v_fma_f64 v[79:80], v[41:42], 2.0, -v[47:48]
	v_fma_f64 v[75:76], v[37:38], s[14:15], v[83:84]
	v_fma_f64 v[91:92], v[81:82], 2.0, -v[59:60]
	v_fma_f64 v[99:100], v[9:10], 2.0, -v[67:68]
	;; [unrolled: 1-line block ×5, first 2 shown]
	v_fma_f64 v[73:74], v[21:22], s[16:17], v[85:86]
	v_fma_f64 v[93:94], v[35:36], 2.0, -v[61:62]
	v_fma_f64 v[85:86], v[19:20], 2.0, -v[53:54]
	;; [unrolled: 1-line block ×9, first 2 shown]
	ds_store_b128 v255, v[93:96]
	ds_store_b128 v0, v[89:92] offset:1056
	ds_store_b128 v0, v[85:88] offset:1408
	;; [unrolled: 1-line block ×15, first 2 shown]
.LBB0_17:
	s_wait_alu 0xfffe
	s_or_b32 exec_lo, exec_lo, s10
	global_wb scope:SCOPE_SE
	s_wait_dscnt 0x0
	s_barrier_signal -1
	s_barrier_wait -1
	global_inv scope:SCOPE_SE
	ds_load_b128 v[45:48], v255
	ds_load_b128 v[49:52], v0 offset:512
	ds_load_b128 v[53:56], v0 offset:1024
	;; [unrolled: 1-line block ×8, first 2 shown]
	scratch_load_b128 v[95:98], off, off th:TH_LOAD_LU ; 16-byte Folded Reload
	v_mad_co_u64_u32 v[1:2], null, s6, v193, 0
	v_mad_co_u64_u32 v[3:4], null, s4, v208, 0
	s_mov_b32 s0, 0x745d1746
	s_mov_b32 s1, 0x3f6745d1
	s_wait_loadcnt_dscnt 0x8
	v_mul_f64_e32 v[5:6], v[97:98], v[47:48]
	v_mul_f64_e32 v[7:8], v[97:98], v[45:46]
	scratch_load_b128 v[97:100], off, off offset:16 th:TH_LOAD_LU ; 16-byte Folded Reload
	v_fma_f64 v[5:6], v[95:96], v[45:46], v[5:6]
	v_fma_f64 v[7:8], v[95:96], v[47:48], -v[7:8]
	s_wait_loadcnt_dscnt 0x7
	v_mul_f64_e32 v[9:10], v[99:100], v[51:52]
	v_mul_f64_e32 v[11:12], v[99:100], v[49:50]
	scratch_load_b128 v[99:102], off, off offset:32 th:TH_LOAD_LU ; 16-byte Folded Reload
	ds_load_b128 v[81:84], v0 offset:4608
	ds_load_b128 v[85:88], v0 offset:5120
	v_mov_b32_e32 v0, v2
	v_mov_b32_e32 v2, v4
	scratch_load_b128 v[115:118], off, off offset:144 th:TH_LOAD_LU ; 16-byte Folded Reload
	v_mad_co_u64_u32 v[21:22], null, s7, v193, v[0:1]
	v_mad_co_u64_u32 v[22:23], null, s5, v208, v[2:3]
	s_delay_alu instid0(VALU_DEP_2) | instskip(NEXT) | instid1(VALU_DEP_2)
	v_mov_b32_e32 v2, v21
	v_mov_b32_e32 v4, v22
	s_delay_alu instid0(VALU_DEP_2) | instskip(NEXT) | instid1(VALU_DEP_2)
	v_lshlrev_b64_e32 v[0:1], 4, v[1:2]
	v_lshlrev_b64_e32 v[2:3], 4, v[3:4]
	s_delay_alu instid0(VALU_DEP_2) | instskip(SKIP_1) | instid1(VALU_DEP_3)
	v_add_co_u32 v0, vcc_lo, s2, v0
	s_wait_alu 0xfffd
	v_add_co_ci_u32_e32 v1, vcc_lo, s3, v1, vcc_lo
	s_lshl_b64 s[2:3], s[4:5], 9
	v_fma_f64 v[9:10], v[97:98], v[49:50], v[9:10]
	v_fma_f64 v[11:12], v[97:98], v[51:52], -v[11:12]
	v_add_co_u32 v49, vcc_lo, v0, v2
	s_wait_alu 0xfffd
	v_add_co_ci_u32_e32 v50, vcc_lo, v1, v3, vcc_lo
	s_wait_alu 0xfffe
	v_mul_f64_e32 v[0:1], s[0:1], v[5:6]
	v_mul_f64_e32 v[2:3], s[0:1], v[7:8]
	v_add_co_u32 v51, vcc_lo, v49, s2
	s_wait_alu 0xfffd
	v_add_co_ci_u32_e32 v52, vcc_lo, s3, v50, vcc_lo
	v_mul_f64_e32 v[4:5], s[0:1], v[9:10]
	v_mul_f64_e32 v[6:7], s[0:1], v[11:12]
	s_wait_loadcnt_dscnt 0x108
	v_mul_f64_e32 v[13:14], v[101:102], v[55:56]
	v_mul_f64_e32 v[15:16], v[101:102], v[53:54]
	scratch_load_b128 v[101:104], off, off offset:48 th:TH_LOAD_LU ; 16-byte Folded Reload
	s_wait_loadcnt_dscnt 0x102
	v_mul_f64_e32 v[39:40], v[117:118], v[79:80]
	v_mul_f64_e32 v[41:42], v[117:118], v[77:78]
	scratch_load_b128 v[117:120], off, off offset:160 th:TH_LOAD_LU ; 16-byte Folded Reload
	v_fma_f64 v[13:14], v[99:100], v[53:54], v[13:14]
	v_fma_f64 v[15:16], v[99:100], v[55:56], -v[15:16]
	v_add_co_u32 v53, vcc_lo, v51, s2
	s_wait_alu 0xfffd
	v_add_co_ci_u32_e32 v54, vcc_lo, s3, v52, vcc_lo
	s_delay_alu instid0(VALU_DEP_2) | instskip(SKIP_1) | instid1(VALU_DEP_2)
	v_add_co_u32 v55, vcc_lo, v53, s2
	s_wait_alu 0xfffd
	v_add_co_ci_u32_e32 v56, vcc_lo, s3, v54, vcc_lo
	v_mul_f64_e32 v[8:9], s[0:1], v[13:14]
	v_mul_f64_e32 v[10:11], s[0:1], v[15:16]
	s_wait_loadcnt 0x1
	v_mul_f64_e32 v[17:18], v[103:104], v[59:60]
	v_mul_f64_e32 v[19:20], v[103:104], v[57:58]
	scratch_load_b128 v[103:106], off, off offset:64 th:TH_LOAD_LU ; 16-byte Folded Reload
	s_wait_loadcnt_dscnt 0x100
	v_mul_f64_e32 v[91:92], v[119:120], v[87:88]
	v_mul_f64_e32 v[93:94], v[119:120], v[85:86]
	v_fma_f64 v[17:18], v[101:102], v[57:58], v[17:18]
	v_fma_f64 v[19:20], v[101:102], v[59:60], -v[19:20]
	s_delay_alu instid0(VALU_DEP_4) | instskip(NEXT) | instid1(VALU_DEP_4)
	v_fma_f64 v[45:46], v[117:118], v[85:86], v[91:92]
	v_fma_f64 v[47:48], v[117:118], v[87:88], -v[93:94]
	s_delay_alu instid0(VALU_DEP_4) | instskip(NEXT) | instid1(VALU_DEP_4)
	v_mul_f64_e32 v[12:13], s[0:1], v[17:18]
	v_mul_f64_e32 v[14:15], s[0:1], v[19:20]
	s_wait_loadcnt 0x0
	v_mul_f64_e32 v[23:24], v[105:106], v[67:68]
	v_mul_f64_e32 v[25:26], v[105:106], v[65:66]
	scratch_load_b128 v[105:108], off, off offset:80 th:TH_LOAD_LU ; 16-byte Folded Reload
	v_fma_f64 v[21:22], v[103:104], v[65:66], v[23:24]
	v_fma_f64 v[23:24], v[103:104], v[67:68], -v[25:26]
	s_delay_alu instid0(VALU_DEP_2) | instskip(NEXT) | instid1(VALU_DEP_2)
	v_mul_f64_e32 v[16:17], s[0:1], v[21:22]
	v_mul_f64_e32 v[18:19], s[0:1], v[23:24]
	s_wait_loadcnt 0x0
	v_mul_f64_e32 v[27:28], v[107:108], v[63:64]
	v_mul_f64_e32 v[29:30], v[107:108], v[61:62]
	scratch_load_b128 v[107:110], off, off offset:96 th:TH_LOAD_LU ; 16-byte Folded Reload
	v_fma_f64 v[25:26], v[105:106], v[61:62], v[27:28]
	v_fma_f64 v[27:28], v[105:106], v[63:64], -v[29:30]
	s_delay_alu instid0(VALU_DEP_2) | instskip(NEXT) | instid1(VALU_DEP_2)
	;; [unrolled: 9-line block ×3, first 2 shown]
	v_mul_f64_e32 v[24:25], s[0:1], v[29:30]
	v_mul_f64_e32 v[26:27], s[0:1], v[31:32]
	s_wait_loadcnt 0x0
	v_mul_f64_e32 v[35:36], v[111:112], v[75:76]
	v_mul_f64_e32 v[37:38], v[111:112], v[73:74]
	scratch_load_b128 v[111:114], off, off offset:128 th:TH_LOAD_LU ; 16-byte Folded Reload
	s_clause 0x3
	global_store_b128 v[49:50], v[0:3], off
	global_store_b128 v[51:52], v[4:7], off
	global_store_b128 v[53:54], v[8:11], off
	global_store_b128 v[55:56], v[12:15], off
	v_fma_f64 v[33:34], v[109:110], v[73:74], v[35:36]
	v_fma_f64 v[35:36], v[109:110], v[75:76], -v[37:38]
	v_fma_f64 v[37:38], v[115:116], v[77:78], v[39:40]
	v_fma_f64 v[39:40], v[115:116], v[79:80], -v[41:42]
	s_delay_alu instid0(VALU_DEP_4) | instskip(NEXT) | instid1(VALU_DEP_4)
	v_mul_f64_e32 v[28:29], s[0:1], v[33:34]
	v_mul_f64_e32 v[30:31], s[0:1], v[35:36]
	s_delay_alu instid0(VALU_DEP_4) | instskip(NEXT) | instid1(VALU_DEP_4)
	v_mul_f64_e32 v[32:33], s[0:1], v[37:38]
	v_mul_f64_e32 v[34:35], s[0:1], v[39:40]
	s_wait_loadcnt 0x0
	v_mul_f64_e32 v[43:44], v[113:114], v[83:84]
	v_mul_f64_e32 v[89:90], v[113:114], v[81:82]
	s_delay_alu instid0(VALU_DEP_2) | instskip(NEXT) | instid1(VALU_DEP_2)
	v_fma_f64 v[41:42], v[111:112], v[81:82], v[43:44]
	v_fma_f64 v[43:44], v[111:112], v[83:84], -v[89:90]
	s_delay_alu instid0(VALU_DEP_2) | instskip(NEXT) | instid1(VALU_DEP_2)
	v_mul_f64_e32 v[36:37], s[0:1], v[41:42]
	v_mul_f64_e32 v[38:39], s[0:1], v[43:44]
	;; [unrolled: 1-line block ×4, first 2 shown]
	v_add_co_u32 v44, vcc_lo, v55, s2
	s_wait_alu 0xfffd
	v_add_co_ci_u32_e32 v45, vcc_lo, s3, v56, vcc_lo
	s_delay_alu instid0(VALU_DEP_2) | instskip(SKIP_1) | instid1(VALU_DEP_2)
	v_add_co_u32 v46, vcc_lo, v44, s2
	s_wait_alu 0xfffd
	v_add_co_ci_u32_e32 v47, vcc_lo, s3, v45, vcc_lo
	global_store_b128 v[44:45], v[16:19], off
	v_add_co_u32 v57, vcc_lo, v46, s2
	s_wait_alu 0xfffd
	v_add_co_ci_u32_e32 v58, vcc_lo, s3, v47, vcc_lo
	global_store_b128 v[46:47], v[20:23], off
	v_add_co_u32 v0, vcc_lo, v57, s2
	s_wait_alu 0xfffd
	v_add_co_ci_u32_e32 v1, vcc_lo, s3, v58, vcc_lo
	s_delay_alu instid0(VALU_DEP_2) | instskip(SKIP_1) | instid1(VALU_DEP_2)
	v_add_co_u32 v2, vcc_lo, v0, s2
	s_wait_alu 0xfffd
	v_add_co_ci_u32_e32 v3, vcc_lo, s3, v1, vcc_lo
	s_delay_alu instid0(VALU_DEP_2) | instskip(SKIP_1) | instid1(VALU_DEP_2)
	;; [unrolled: 4-line block ×3, first 2 shown]
	v_add_co_u32 v6, vcc_lo, v4, s2
	s_wait_alu 0xfffd
	v_add_co_ci_u32_e32 v7, vcc_lo, s3, v5, vcc_lo
	global_store_b128 v[57:58], v[24:27], off
	global_store_b128 v[0:1], v[28:31], off
	global_store_b128 v[2:3], v[32:35], off
	global_store_b128 v[4:5], v[36:39], off
	global_store_b128 v[6:7], v[40:43], off
.LBB0_18:
	s_nop 0
	s_sendmsg sendmsg(MSG_DEALLOC_VGPRS)
	s_endpgm
	.section	.rodata,"a",@progbits
	.p2align	6, 0x0
	.amdhsa_kernel bluestein_single_fwd_len352_dim1_dp_op_CI_CI
		.amdhsa_group_segment_fixed_size 11264
		.amdhsa_private_segment_fixed_size 212
		.amdhsa_kernarg_size 104
		.amdhsa_user_sgpr_count 2
		.amdhsa_user_sgpr_dispatch_ptr 0
		.amdhsa_user_sgpr_queue_ptr 0
		.amdhsa_user_sgpr_kernarg_segment_ptr 1
		.amdhsa_user_sgpr_dispatch_id 0
		.amdhsa_user_sgpr_private_segment_size 0
		.amdhsa_wavefront_size32 1
		.amdhsa_uses_dynamic_stack 0
		.amdhsa_enable_private_segment 1
		.amdhsa_system_sgpr_workgroup_id_x 1
		.amdhsa_system_sgpr_workgroup_id_y 0
		.amdhsa_system_sgpr_workgroup_id_z 0
		.amdhsa_system_sgpr_workgroup_info 0
		.amdhsa_system_vgpr_workitem_id 0
		.amdhsa_next_free_vgpr 256
		.amdhsa_next_free_sgpr 40
		.amdhsa_reserve_vcc 1
		.amdhsa_float_round_mode_32 0
		.amdhsa_float_round_mode_16_64 0
		.amdhsa_float_denorm_mode_32 3
		.amdhsa_float_denorm_mode_16_64 3
		.amdhsa_fp16_overflow 0
		.amdhsa_workgroup_processor_mode 1
		.amdhsa_memory_ordered 1
		.amdhsa_forward_progress 0
		.amdhsa_round_robin_scheduling 0
		.amdhsa_exception_fp_ieee_invalid_op 0
		.amdhsa_exception_fp_denorm_src 0
		.amdhsa_exception_fp_ieee_div_zero 0
		.amdhsa_exception_fp_ieee_overflow 0
		.amdhsa_exception_fp_ieee_underflow 0
		.amdhsa_exception_fp_ieee_inexact 0
		.amdhsa_exception_int_div_zero 0
	.end_amdhsa_kernel
	.text
.Lfunc_end0:
	.size	bluestein_single_fwd_len352_dim1_dp_op_CI_CI, .Lfunc_end0-bluestein_single_fwd_len352_dim1_dp_op_CI_CI
                                        ; -- End function
	.section	.AMDGPU.csdata,"",@progbits
; Kernel info:
; codeLenInByte = 14020
; NumSgprs: 42
; NumVgprs: 256
; ScratchSize: 212
; MemoryBound: 0
; FloatMode: 240
; IeeeMode: 1
; LDSByteSize: 11264 bytes/workgroup (compile time only)
; SGPRBlocks: 5
; VGPRBlocks: 31
; NumSGPRsForWavesPerEU: 42
; NumVGPRsForWavesPerEU: 256
; Occupancy: 5
; WaveLimiterHint : 1
; COMPUTE_PGM_RSRC2:SCRATCH_EN: 1
; COMPUTE_PGM_RSRC2:USER_SGPR: 2
; COMPUTE_PGM_RSRC2:TRAP_HANDLER: 0
; COMPUTE_PGM_RSRC2:TGID_X_EN: 1
; COMPUTE_PGM_RSRC2:TGID_Y_EN: 0
; COMPUTE_PGM_RSRC2:TGID_Z_EN: 0
; COMPUTE_PGM_RSRC2:TIDIG_COMP_CNT: 0
	.text
	.p2alignl 7, 3214868480
	.fill 96, 4, 3214868480
	.type	__hip_cuid_42252ea5b8d4c861,@object ; @__hip_cuid_42252ea5b8d4c861
	.section	.bss,"aw",@nobits
	.globl	__hip_cuid_42252ea5b8d4c861
__hip_cuid_42252ea5b8d4c861:
	.byte	0                               ; 0x0
	.size	__hip_cuid_42252ea5b8d4c861, 1

	.ident	"AMD clang version 19.0.0git (https://github.com/RadeonOpenCompute/llvm-project roc-6.4.0 25133 c7fe45cf4b819c5991fe208aaa96edf142730f1d)"
	.section	".note.GNU-stack","",@progbits
	.addrsig
	.addrsig_sym __hip_cuid_42252ea5b8d4c861
	.amdgpu_metadata
---
amdhsa.kernels:
  - .args:
      - .actual_access:  read_only
        .address_space:  global
        .offset:         0
        .size:           8
        .value_kind:     global_buffer
      - .actual_access:  read_only
        .address_space:  global
        .offset:         8
        .size:           8
        .value_kind:     global_buffer
      - .actual_access:  read_only
        .address_space:  global
        .offset:         16
        .size:           8
        .value_kind:     global_buffer
      - .actual_access:  read_only
        .address_space:  global
        .offset:         24
        .size:           8
        .value_kind:     global_buffer
      - .actual_access:  read_only
        .address_space:  global
        .offset:         32
        .size:           8
        .value_kind:     global_buffer
      - .offset:         40
        .size:           8
        .value_kind:     by_value
      - .address_space:  global
        .offset:         48
        .size:           8
        .value_kind:     global_buffer
      - .address_space:  global
        .offset:         56
        .size:           8
        .value_kind:     global_buffer
      - .address_space:  global
        .offset:         64
        .size:           8
        .value_kind:     global_buffer
      - .address_space:  global
        .offset:         72
        .size:           8
        .value_kind:     global_buffer
      - .offset:         80
        .size:           4
        .value_kind:     by_value
      - .address_space:  global
        .offset:         88
        .size:           8
        .value_kind:     global_buffer
      - .address_space:  global
        .offset:         96
        .size:           8
        .value_kind:     global_buffer
    .group_segment_fixed_size: 11264
    .kernarg_segment_align: 8
    .kernarg_segment_size: 104
    .language:       OpenCL C
    .language_version:
      - 2
      - 0
    .max_flat_workgroup_size: 64
    .name:           bluestein_single_fwd_len352_dim1_dp_op_CI_CI
    .private_segment_fixed_size: 212
    .sgpr_count:     42
    .sgpr_spill_count: 0
    .symbol:         bluestein_single_fwd_len352_dim1_dp_op_CI_CI.kd
    .uniform_work_group_size: 1
    .uses_dynamic_stack: false
    .vgpr_count:     256
    .vgpr_spill_count: 52
    .wavefront_size: 32
    .workgroup_processor_mode: 1
amdhsa.target:   amdgcn-amd-amdhsa--gfx1201
amdhsa.version:
  - 1
  - 2
...

	.end_amdgpu_metadata
